;; amdgpu-corpus repo=ROCm/rocFFT kind=compiled arch=gfx906 opt=O3
	.text
	.amdgcn_target "amdgcn-amd-amdhsa--gfx906"
	.amdhsa_code_object_version 6
	.protected	bluestein_single_back_len130_dim1_dp_op_CI_CI ; -- Begin function bluestein_single_back_len130_dim1_dp_op_CI_CI
	.globl	bluestein_single_back_len130_dim1_dp_op_CI_CI
	.p2align	8
	.type	bluestein_single_back_len130_dim1_dp_op_CI_CI,@function
bluestein_single_back_len130_dim1_dp_op_CI_CI: ; @bluestein_single_back_len130_dim1_dp_op_CI_CI
; %bb.0:
	s_load_dwordx4 s[0:3], s[4:5], 0x28
	v_mul_u32_u24_e32 v1, 0x13b2, v0
	v_lshrrev_b32_e32 v1, 16, v1
	v_lshl_add_u32 v100, s6, 2, v1
	v_mov_b32_e32 v101, 0
	s_waitcnt lgkmcnt(0)
	v_cmp_gt_u64_e32 vcc, s[0:1], v[100:101]
	s_and_saveexec_b64 s[0:1], vcc
	s_cbranch_execz .LBB0_15
; %bb.1:
	s_load_dwordx2 s[12:13], s[4:5], 0x0
	s_load_dwordx2 s[6:7], s[4:5], 0x38
	v_mul_lo_u16_e32 v2, 13, v1
	v_sub_u16_e32 v205, v0, v2
	v_and_b32_e32 v0, 3, v1
	v_mul_u32_u24_e32 v209, 0x82, v0
	v_cmp_gt_u16_e32 vcc, 10, v205
	v_lshlrev_b32_e32 v206, 4, v205
	v_lshlrev_b32_e32 v207, 4, v209
	s_and_saveexec_b64 s[14:15], vcc
	s_cbranch_execz .LBB0_3
; %bb.2:
	s_load_dwordx2 s[0:1], s[4:5], 0x18
	v_or_b32_e32 v55, 0x50, v205
	s_waitcnt lgkmcnt(0)
	s_load_dwordx4 s[8:11], s[0:1], 0x0
	s_waitcnt lgkmcnt(0)
	v_mad_u64_u32 v[0:1], s[0:1], s10, v100, 0
	v_mad_u64_u32 v[2:3], s[0:1], s8, v205, 0
	;; [unrolled: 1-line block ×4, first 2 shown]
	v_mov_b32_e32 v1, v4
	v_lshlrev_b64 v[0:1], 4, v[0:1]
	v_mov_b32_e32 v3, v5
	v_mov_b32_e32 v6, s3
	v_lshlrev_b64 v[2:3], 4, v[2:3]
	v_add_co_u32_e64 v70, s[0:1], s2, v0
	v_addc_co_u32_e64 v71, s[0:1], v6, v1, s[0:1]
	v_add_co_u32_e64 v16, s[0:1], v70, v2
	v_addc_co_u32_e64 v17, s[0:1], v71, v3, s[0:1]
	s_mul_i32 s0, s9, 0xa0
	s_mul_hi_u32 s2, s8, 0xa0
	s_add_i32 s2, s2, s0
	s_mul_i32 s3, s8, 0xa0
	v_mov_b32_e32 v0, s2
	v_add_co_u32_e64 v18, s[0:1], s3, v16
	v_addc_co_u32_e64 v19, s[0:1], v17, v0, s[0:1]
	global_load_dwordx4 v[0:3], v[16:17], off
	global_load_dwordx4 v[4:7], v[18:19], off
	global_load_dwordx4 v[8:11], v206, s[12:13]
	global_load_dwordx4 v[12:15], v206, s[12:13] offset:160
	v_mov_b32_e32 v16, s2
	v_add_co_u32_e64 v32, s[0:1], s3, v18
	v_addc_co_u32_e64 v33, s[0:1], v19, v16, s[0:1]
	v_add_co_u32_e64 v34, s[0:1], s3, v32
	v_addc_co_u32_e64 v35, s[0:1], v33, v16, s[0:1]
	global_load_dwordx4 v[16:19], v[32:33], off
	global_load_dwordx4 v[20:23], v[34:35], off
	global_load_dwordx4 v[24:27], v206, s[12:13] offset:320
	global_load_dwordx4 v[28:31], v206, s[12:13] offset:480
	v_mov_b32_e32 v32, s2
	v_add_co_u32_e64 v36, s[0:1], s3, v34
	v_addc_co_u32_e64 v37, s[0:1], v35, v32, s[0:1]
	v_mov_b32_e32 v38, s2
	v_add_co_u32_e64 v48, s[0:1], s3, v36
	v_addc_co_u32_e64 v49, s[0:1], v37, v38, s[0:1]
	;; [unrolled: 3-line block ×3, first 2 shown]
	v_mad_u64_u32 v[64:65], s[0:1], s8, v55, 0
	global_load_dwordx4 v[32:35], v[36:37], off
	s_nop 0
	global_load_dwordx4 v[36:39], v[48:49], off
	global_load_dwordx4 v[40:43], v206, s[12:13] offset:640
	global_load_dwordx4 v[44:47], v206, s[12:13] offset:800
	v_mov_b32_e32 v54, s2
	global_load_dwordx4 v[48:51], v[52:53], off
	v_add_co_u32_e64 v66, s[0:1], s3, v52
	v_mov_b32_e32 v52, v65
	v_addc_co_u32_e64 v67, s[0:1], v53, v54, s[0:1]
	v_mad_u64_u32 v[68:69], s[0:1], s9, v55, v[52:53]
	v_mov_b32_e32 v82, s2
	global_load_dwordx4 v[52:55], v[66:67], off
	global_load_dwordx4 v[56:59], v206, s[12:13] offset:960
	global_load_dwordx4 v[60:63], v206, s[12:13] offset:1120
	v_mov_b32_e32 v65, v68
	v_lshlrev_b64 v[64:65], 4, v[64:65]
	v_mov_b32_e32 v68, 0x140
	v_mad_u64_u32 v[80:81], s[0:1], s8, v68, v[66:67]
	v_add_co_u32_e64 v64, s[0:1], v70, v64
	v_addc_co_u32_e64 v65, s[0:1], v71, v65, s[0:1]
	s_mul_i32 s0, s9, 0x140
	v_add_u32_e32 v81, s0, v81
	v_add_co_u32_e64 v84, s[0:1], s3, v80
	v_addc_co_u32_e64 v85, s[0:1], v81, v82, s[0:1]
	global_load_dwordx4 v[64:67], v[64:65], off
	v_mov_b32_e32 v86, s2
	v_add_co_u32_e64 v96, s[0:1], s3, v84
	global_load_dwordx4 v[68:71], v[80:81], off
	global_load_dwordx4 v[72:75], v206, s[12:13] offset:1280
	global_load_dwordx4 v[76:79], v206, s[12:13] offset:1440
	v_addc_co_u32_e64 v97, s[0:1], v85, v86, s[0:1]
	global_load_dwordx4 v[80:83], v[84:85], off
	v_mov_b32_e32 v98, s2
	v_add_co_u32_e64 v105, s[0:1], s3, v96
	global_load_dwordx4 v[84:87], v[96:97], off
	global_load_dwordx4 v[88:91], v206, s[12:13] offset:1600
	global_load_dwordx4 v[92:95], v206, s[12:13] offset:1760
	v_addc_co_u32_e64 v106, s[0:1], v97, v98, s[0:1]
	global_load_dwordx4 v[96:99], v[105:106], off
	global_load_dwordx4 v[101:104], v206, s[12:13] offset:1920
	s_waitcnt vmcnt(23)
	v_mul_f64 v[105:106], v[2:3], v[10:11]
	v_mul_f64 v[10:11], v[0:1], v[10:11]
	v_fma_f64 v[0:1], v[0:1], v[8:9], v[105:106]
	v_fma_f64 v[2:3], v[2:3], v[8:9], -v[10:11]
	s_waitcnt vmcnt(22)
	v_mul_f64 v[8:9], v[6:7], v[14:15]
	v_mul_f64 v[10:11], v[4:5], v[14:15]
	s_waitcnt vmcnt(19)
	v_mul_f64 v[14:15], v[18:19], v[26:27]
	v_mul_f64 v[26:27], v[16:17], v[26:27]
	;; [unrolled: 3-line block ×3, first 2 shown]
	v_fma_f64 v[4:5], v[4:5], v[12:13], v[8:9]
	v_fma_f64 v[6:7], v[6:7], v[12:13], -v[10:11]
	v_fma_f64 v[8:9], v[16:17], v[24:25], v[14:15]
	v_fma_f64 v[10:11], v[18:19], v[24:25], -v[26:27]
	;; [unrolled: 2-line block ×3, first 2 shown]
	v_lshl_add_u32 v20, v205, 4, v207
	ds_write_b128 v20, v[0:3]
	s_waitcnt vmcnt(15)
	v_mul_f64 v[107:108], v[34:35], v[42:43]
	v_mul_f64 v[42:43], v[32:33], v[42:43]
	s_waitcnt vmcnt(14)
	v_mul_f64 v[0:1], v[38:39], v[46:47]
	v_mul_f64 v[2:3], v[36:37], v[46:47]
	v_fma_f64 v[16:17], v[32:33], v[40:41], v[107:108]
	v_fma_f64 v[18:19], v[34:35], v[40:41], -v[42:43]
	v_add_u32_e32 v32, v207, v206
	ds_write_b128 v32, v[4:7] offset:160
	ds_write_b128 v32, v[8:11] offset:320
	;; [unrolled: 1-line block ×4, first 2 shown]
	s_waitcnt vmcnt(11)
	v_mul_f64 v[4:5], v[50:51], v[58:59]
	v_mul_f64 v[6:7], v[48:49], v[58:59]
	s_waitcnt vmcnt(10)
	v_mul_f64 v[8:9], v[54:55], v[62:63]
	v_mul_f64 v[10:11], v[52:53], v[62:63]
	v_fma_f64 v[0:1], v[36:37], v[44:45], v[0:1]
	v_fma_f64 v[2:3], v[38:39], v[44:45], -v[2:3]
	v_fma_f64 v[4:5], v[48:49], v[56:57], v[4:5]
	v_fma_f64 v[6:7], v[50:51], v[56:57], -v[6:7]
	;; [unrolled: 2-line block ×3, first 2 shown]
	s_waitcnt vmcnt(7)
	v_mul_f64 v[12:13], v[66:67], v[74:75]
	v_mul_f64 v[14:15], v[64:65], v[74:75]
	s_waitcnt vmcnt(6)
	v_mul_f64 v[16:17], v[70:71], v[78:79]
	v_mul_f64 v[18:19], v[68:69], v[78:79]
	;; [unrolled: 3-line block ×5, first 2 shown]
	v_fma_f64 v[12:13], v[64:65], v[72:73], v[12:13]
	v_fma_f64 v[14:15], v[66:67], v[72:73], -v[14:15]
	v_fma_f64 v[16:17], v[68:69], v[76:77], v[16:17]
	v_fma_f64 v[18:19], v[70:71], v[76:77], -v[18:19]
	;; [unrolled: 2-line block ×5, first 2 shown]
	ds_write_b128 v32, v[0:3] offset:800
	ds_write_b128 v32, v[4:7] offset:960
	;; [unrolled: 1-line block ×8, first 2 shown]
.LBB0_3:
	s_or_b64 exec, exec, s[14:15]
	s_load_dwordx2 s[0:1], s[4:5], 0x20
	s_load_dwordx2 s[2:3], s[4:5], 0x8
	s_waitcnt lgkmcnt(0)
	; wave barrier
	s_waitcnt lgkmcnt(0)
                                        ; implicit-def: $vgpr12_vgpr13
                                        ; implicit-def: $vgpr16_vgpr17
                                        ; implicit-def: $vgpr20_vgpr21
                                        ; implicit-def: $vgpr24_vgpr25
                                        ; implicit-def: $vgpr28_vgpr29
                                        ; implicit-def: $vgpr32_vgpr33
                                        ; implicit-def: $vgpr36_vgpr37
                                        ; implicit-def: $vgpr40_vgpr41
                                        ; implicit-def: $vgpr44_vgpr45
                                        ; implicit-def: $vgpr48_vgpr49
                                        ; implicit-def: $vgpr52_vgpr53
                                        ; implicit-def: $vgpr56_vgpr57
                                        ; implicit-def: $vgpr60_vgpr61
	s_and_saveexec_b64 s[4:5], vcc
	s_cbranch_execz .LBB0_5
; %bb.4:
	v_lshl_add_u32 v0, v209, 4, v206
	ds_read_b128 v[12:15], v0
	ds_read_b128 v[16:19], v0 offset:160
	ds_read_b128 v[20:23], v0 offset:320
	;; [unrolled: 1-line block ×12, first 2 shown]
.LBB0_5:
	s_or_b64 exec, exec, s[4:5]
	s_waitcnt lgkmcnt(0)
	v_add_f64 v[105:106], v[18:19], -v[62:63]
	v_add_f64 v[94:95], v[16:17], -v[60:61]
	s_mov_b32 s16, 0x4267c47c
	s_mov_b32 s17, 0xbfddbe06
	v_add_f64 v[86:87], v[16:17], v[60:61]
	v_add_f64 v[117:118], v[18:19], v[62:63]
	v_add_f64 v[123:124], v[22:23], -v[58:59]
	v_add_f64 v[109:110], v[20:21], -v[56:57]
	v_mul_f64 v[68:69], v[105:106], s[16:17]
	v_mul_f64 v[70:71], v[94:95], s[16:17]
	s_mov_b32 s8, 0xe00740e9
	s_mov_b32 s14, 0x42a4c3d2
	;; [unrolled: 1-line block ×4, first 2 shown]
	v_add_f64 v[96:97], v[20:21], v[56:57]
	v_add_f64 v[135:136], v[22:23], v[58:59]
	v_fma_f64 v[0:1], v[86:87], s[8:9], v[68:69]
	v_fma_f64 v[2:3], v[117:118], s[8:9], -v[70:71]
	v_mul_f64 v[72:73], v[123:124], s[14:15]
	v_mul_f64 v[74:75], v[109:110], s[14:15]
	v_add_f64 v[155:156], v[26:27], -v[54:55]
	v_add_f64 v[121:122], v[24:25], -v[52:53]
	s_mov_b32 s4, 0x1ea71119
	s_mov_b32 s20, 0x66966769
	;; [unrolled: 1-line block ×4, first 2 shown]
	v_add_f64 v[0:1], v[12:13], v[0:1]
	v_add_f64 v[2:3], v[14:15], v[2:3]
	v_fma_f64 v[4:5], v[96:97], s[4:5], v[72:73]
	v_fma_f64 v[6:7], v[135:136], s[4:5], -v[74:75]
	v_add_f64 v[107:108], v[24:25], v[52:53]
	v_add_f64 v[127:128], v[26:27], v[54:55]
	v_mul_f64 v[76:77], v[155:156], s[20:21]
	v_mul_f64 v[78:79], v[121:122], s[20:21]
	v_add_f64 v[151:152], v[30:31], -v[50:51]
	v_add_f64 v[129:130], v[28:29], -v[48:49]
	s_mov_b32 s10, 0xebaa3ed8
	s_mov_b32 s26, 0x2ef20147
	;; [unrolled: 1-line block ×4, first 2 shown]
	v_add_f64 v[0:1], v[4:5], v[0:1]
	v_add_f64 v[2:3], v[6:7], v[2:3]
	v_fma_f64 v[4:5], v[107:108], s[10:11], v[76:77]
	v_add_f64 v[115:116], v[28:29], v[48:49]
	v_mul_f64 v[80:81], v[151:152], s[26:27]
	v_fma_f64 v[6:7], v[127:128], s[10:11], -v[78:79]
	v_add_f64 v[131:132], v[30:31], v[50:51]
	v_mul_f64 v[82:83], v[129:130], s[26:27]
	v_add_f64 v[145:146], v[34:35], -v[46:47]
	v_add_f64 v[171:172], v[32:33], -v[44:45]
	s_mov_b32 s22, 0xb2365da1
	s_mov_b32 s30, 0x24c2f84
	;; [unrolled: 1-line block ×6, first 2 shown]
	v_add_f64 v[0:1], v[4:5], v[0:1]
	v_fma_f64 v[4:5], v[115:116], s[22:23], v[80:81]
	v_add_f64 v[137:138], v[32:33], v[44:45]
	v_mul_f64 v[84:85], v[145:146], s[36:37]
	v_add_f64 v[2:3], v[6:7], v[2:3]
	v_fma_f64 v[6:7], v[131:132], s[22:23], -v[82:83]
	v_add_f64 v[161:162], v[34:35], v[46:47]
	v_mul_f64 v[88:89], v[171:172], s[36:37]
	s_mov_b32 s24, 0xd0032e0c
	s_mov_b32 s25, 0xbfe7f3cc
	v_add_f64 v[0:1], v[4:5], v[0:1]
	v_fma_f64 v[4:5], v[137:138], s[24:25], v[84:85]
	v_mul_f64 v[98:99], v[105:106], s[14:15]
	v_add_f64 v[2:3], v[6:7], v[2:3]
	v_mul_f64 v[149:150], v[94:95], s[14:15]
	v_fma_f64 v[6:7], v[161:162], s[24:25], -v[88:89]
	v_mul_f64 v[101:102], v[123:124], s[26:27]
	v_mul_f64 v[113:114], v[109:110], s[26:27]
	s_mov_b32 s34, 0x4bc48dbf
	v_add_f64 v[0:1], v[4:5], v[0:1]
	v_fma_f64 v[4:5], v[86:87], s[4:5], v[98:99]
	s_mov_b32 s35, 0xbfcea1e5
	v_mul_f64 v[103:104], v[155:156], s[34:35]
	v_add_f64 v[2:3], v[6:7], v[2:3]
	v_fma_f64 v[6:7], v[117:118], s[4:5], -v[149:150]
	v_fma_f64 v[8:9], v[96:97], s[22:23], v[101:102]
	v_fma_f64 v[10:11], v[135:136], s[22:23], -v[113:114]
	v_mul_f64 v[119:120], v[121:122], s[34:35]
	v_add_f64 v[4:5], v[12:13], v[4:5]
	v_mul_f64 v[141:142], v[105:106], s[20:21]
	v_mul_f64 v[201:202], v[94:95], s[20:21]
	s_mov_b32 s28, 0x93053d00
	v_add_f64 v[6:7], v[14:15], v[6:7]
	s_mov_b32 s29, 0xbfef11f4
	v_mul_f64 v[111:112], v[151:152], s[30:31]
	v_mul_f64 v[139:140], v[129:130], s[30:31]
	v_add_f64 v[4:5], v[8:9], v[4:5]
	v_fma_f64 v[8:9], v[107:108], s[28:29], v[103:104]
	v_fma_f64 v[125:126], v[86:87], s[10:11], v[141:142]
	v_mul_f64 v[143:144], v[123:124], s[34:35]
	v_add_f64 v[6:7], v[10:11], v[6:7]
	v_fma_f64 v[10:11], v[127:128], s[28:29], -v[119:120]
	v_fma_f64 v[133:134], v[117:118], s[10:11], -v[201:202]
	v_mul_f64 v[199:200], v[109:110], s[34:35]
	s_mov_b32 s43, 0x3fedeba7
	s_mov_b32 s42, s26
	v_add_f64 v[4:5], v[8:9], v[4:5]
	v_fma_f64 v[8:9], v[115:116], s[24:25], v[111:112]
	v_add_f64 v[125:126], v[12:13], v[125:126]
	v_add_f64 v[6:7], v[10:11], v[6:7]
	v_fma_f64 v[10:11], v[131:132], s[24:25], -v[139:140]
	v_fma_f64 v[153:154], v[96:97], s[28:29], v[143:144]
	v_add_f64 v[133:134], v[14:15], v[133:134]
	v_fma_f64 v[157:158], v[135:136], s[28:29], -v[199:200]
	v_mul_f64 v[147:148], v[155:156], s[42:43]
	v_mul_f64 v[165:166], v[121:122], s[42:43]
	s_mov_b32 s39, 0x3fddbe06
	s_mov_b32 s38, s16
	v_add_f64 v[4:5], v[8:9], v[4:5]
	v_add_f64 v[6:7], v[10:11], v[6:7]
	;; [unrolled: 1-line block ×4, first 2 shown]
	v_fma_f64 v[133:134], v[107:108], s[22:23], v[147:148]
	v_fma_f64 v[159:160], v[127:128], s[22:23], -v[165:166]
	v_mul_f64 v[153:154], v[151:152], s[38:39]
	v_mul_f64 v[169:170], v[129:130], s[38:39]
	s_mov_b32 s41, 0x3fefc445
	s_mov_b32 s40, s20
	v_add_f64 v[183:184], v[38:39], -v[42:43]
	v_add_f64 v[189:190], v[36:37], -v[40:41]
	v_mul_f64 v[125:126], v[145:146], s[40:41]
	v_mul_f64 v[157:158], v[171:172], s[40:41]
	v_add_f64 v[8:9], v[133:134], v[8:9]
	v_add_f64 v[10:11], v[159:160], v[10:11]
	v_fma_f64 v[167:168], v[115:116], s[8:9], v[153:154]
	v_fma_f64 v[175:176], v[131:132], s[8:9], -v[169:170]
	v_mul_f64 v[159:160], v[145:146], s[14:15]
	v_mul_f64 v[173:174], v[171:172], s[14:15]
	v_add_f64 v[177:178], v[36:37], v[40:41]
	v_mul_f64 v[90:91], v[183:184], s[34:35]
	v_add_f64 v[185:186], v[38:39], v[42:43]
	v_mul_f64 v[92:93], v[189:190], s[34:35]
	v_fma_f64 v[179:180], v[137:138], s[10:11], v[125:126]
	v_fma_f64 v[181:182], v[161:162], s[10:11], -v[157:158]
	v_mul_f64 v[133:134], v[183:184], s[38:39]
	v_mul_f64 v[163:164], v[189:190], s[38:39]
	v_add_f64 v[8:9], v[167:168], v[8:9]
	v_add_f64 v[10:11], v[175:176], v[10:11]
	v_fma_f64 v[187:188], v[137:138], s[4:5], v[159:160]
	v_fma_f64 v[191:192], v[161:162], s[4:5], -v[173:174]
	v_mul_f64 v[167:168], v[183:184], s[36:37]
	v_mul_f64 v[175:176], v[189:190], s[36:37]
	v_fma_f64 v[64:65], v[177:178], s[28:29], v[90:91]
	v_fma_f64 v[66:67], v[185:186], s[28:29], -v[92:93]
	v_add_f64 v[4:5], v[179:180], v[4:5]
	v_add_f64 v[6:7], v[181:182], v[6:7]
	v_fma_f64 v[179:180], v[177:178], s[8:9], v[133:134]
	v_fma_f64 v[181:182], v[185:186], s[8:9], -v[163:164]
	v_add_f64 v[187:188], v[187:188], v[8:9]
	v_add_f64 v[191:192], v[191:192], v[10:11]
	;; [unrolled: 4-line block ×3, first 2 shown]
	v_add_f64 v[4:5], v[179:180], v[4:5]
	v_add_f64 v[6:7], v[181:182], v[6:7]
	v_mul_lo_u16_e32 v208, 13, v205
	v_add_f64 v[0:1], v[193:194], v[187:188]
	v_add_f64 v[2:3], v[195:196], v[191:192]
	; wave barrier
	s_and_saveexec_b64 s[18:19], vcc
	s_cbranch_execz .LBB0_7
; %bb.6:
	v_mul_f64 v[64:65], v[117:118], s[28:29]
	s_mov_b32 s45, 0x3fcea1e5
	s_mov_b32 s44, s34
	v_mul_f64 v[66:67], v[135:136], s[8:9]
	v_mul_f64 v[214:215], v[105:106], s[34:35]
	;; [unrolled: 1-line block ×5, first 2 shown]
	v_fma_f64 v[210:211], v[94:95], s[44:45], v[64:65]
	v_mul_f64 v[240:241], v[155:156], s[36:37]
	v_fma_f64 v[64:65], v[94:95], s[34:35], v[64:65]
	v_fma_f64 v[226:227], v[109:110], s[16:17], v[66:67]
	;; [unrolled: 1-line block ×4, first 2 shown]
	v_fma_f64 v[214:215], v[86:87], s[28:29], -v[214:215]
	s_mov_b32 s47, 0x3fea55e2
	v_add_f64 v[210:211], v[14:15], v[210:211]
	s_mov_b32 s46, s14
	v_mul_f64 v[216:217], v[161:162], s[22:23]
	v_fma_f64 v[236:237], v[129:130], s[14:15], v[218:219]
	v_add_f64 v[232:233], v[12:13], v[232:233]
	v_mul_f64 v[242:243], v[151:152], s[46:47]
	v_fma_f64 v[244:245], v[107:108], s[24:25], v[240:241]
	v_fma_f64 v[66:67], v[109:110], s[38:39], v[66:67]
	v_add_f64 v[210:211], v[226:227], v[210:211]
	v_fma_f64 v[226:227], v[96:97], s[8:9], v[228:229]
	v_add_f64 v[64:65], v[14:15], v[64:65]
	v_fma_f64 v[228:229], v[96:97], s[8:9], -v[228:229]
	v_add_f64 v[214:215], v[12:13], v[214:215]
	v_mul_f64 v[212:213], v[185:186], s[10:11]
	v_fma_f64 v[234:235], v[171:172], s[42:43], v[216:217]
	v_fma_f64 v[220:221], v[121:122], s[36:37], v[220:221]
	v_add_f64 v[210:211], v[238:239], v[210:211]
	v_add_f64 v[226:227], v[226:227], v[232:233]
	v_mul_f64 v[232:233], v[145:146], s[26:27]
	v_fma_f64 v[238:239], v[115:116], s[4:5], v[242:243]
	v_add_f64 v[64:65], v[66:67], v[64:65]
	v_fma_f64 v[240:241], v[107:108], s[24:25], -v[240:241]
	v_add_f64 v[214:215], v[228:229], v[214:215]
	v_fma_f64 v[230:231], v[189:190], s[20:21], v[212:213]
	v_add_f64 v[210:211], v[236:237], v[210:211]
	v_add_f64 v[66:67], v[244:245], v[226:227]
	v_mul_f64 v[226:227], v[183:184], s[40:41]
	v_fma_f64 v[236:237], v[137:138], s[22:23], v[232:233]
	v_fma_f64 v[218:219], v[129:130], s[46:47], v[218:219]
	v_add_f64 v[64:65], v[220:221], v[64:65]
	v_add_f64 v[214:215], v[240:241], v[214:215]
	v_fma_f64 v[216:217], v[171:172], s[26:27], v[216:217]
	v_add_f64 v[210:211], v[234:235], v[210:211]
	v_add_f64 v[66:67], v[238:239], v[66:67]
	v_fma_f64 v[234:235], v[115:116], s[4:5], -v[242:243]
	v_fma_f64 v[220:221], v[177:178], s[10:11], v[226:227]
	v_fma_f64 v[226:227], v[177:178], s[10:11], -v[226:227]
	v_add_f64 v[64:65], v[218:219], v[64:65]
	v_mul_f64 v[240:241], v[155:156], s[14:15]
	v_mul_f64 v[187:188], v[117:118], s[8:9]
	;; [unrolled: 1-line block ×3, first 2 shown]
	v_add_f64 v[218:219], v[236:237], v[66:67]
	v_add_f64 v[66:67], v[230:231], v[210:211]
	v_mul_f64 v[230:231], v[117:118], s[24:25]
	v_fma_f64 v[210:211], v[189:190], s[40:41], v[212:213]
	v_fma_f64 v[212:213], v[137:138], s[22:23], -v[232:233]
	v_mul_f64 v[232:233], v[105:106], s[36:37]
	v_add_f64 v[214:215], v[234:235], v[214:215]
	v_add_f64 v[216:217], v[216:217], v[64:65]
	v_add_f64 v[64:65], v[220:221], v[218:219]
	v_mul_f64 v[218:219], v[135:136], s[10:11]
	v_fma_f64 v[220:221], v[94:95], s[30:31], v[230:231]
	v_mul_f64 v[234:235], v[123:124], s[40:41]
	v_fma_f64 v[244:245], v[107:108], s[4:5], v[240:241]
	v_fma_f64 v[236:237], v[86:87], s[24:25], v[232:233]
	v_add_f64 v[214:215], v[212:213], v[214:215]
	v_add_f64 v[212:213], v[210:211], v[216:217]
	v_mul_f64 v[216:217], v[127:128], s[4:5]
	v_fma_f64 v[238:239], v[109:110], s[20:21], v[218:219]
	v_add_f64 v[220:221], v[14:15], v[220:221]
	v_fma_f64 v[242:243], v[96:97], s[10:11], v[234:235]
	v_fma_f64 v[218:219], v[109:110], s[40:41], v[218:219]
	v_add_f64 v[236:237], v[12:13], v[236:237]
	v_add_f64 v[210:211], v[226:227], v[214:215]
	v_fma_f64 v[226:227], v[94:95], s[36:37], v[230:231]
	v_mul_f64 v[214:215], v[131:132], s[28:29]
	v_fma_f64 v[230:231], v[121:122], s[46:47], v[216:217]
	v_add_f64 v[220:221], v[238:239], v[220:221]
	v_fma_f64 v[232:233], v[86:87], s[24:25], -v[232:233]
	v_mul_f64 v[238:239], v[161:162], s[8:9]
	v_add_f64 v[236:237], v[242:243], v[236:237]
	v_mul_f64 v[242:243], v[151:152], s[44:45]
	v_add_f64 v[226:227], v[14:15], v[226:227]
	v_fma_f64 v[246:247], v[129:130], s[34:35], v[214:215]
	v_fma_f64 v[216:217], v[121:122], s[14:15], v[216:217]
	v_add_f64 v[220:221], v[230:231], v[220:221]
	v_mul_f64 v[230:231], v[145:146], s[38:39]
	v_fma_f64 v[234:235], v[96:97], s[10:11], -v[234:235]
	v_add_f64 v[236:237], v[244:245], v[236:237]
	v_fma_f64 v[244:245], v[115:116], s[28:29], v[242:243]
	v_add_f64 v[218:219], v[218:219], v[226:227]
	v_add_f64 v[232:233], v[12:13], v[232:233]
	v_mul_f64 v[226:227], v[185:186], s[22:23]
	v_add_f64 v[220:221], v[246:247], v[220:221]
	v_fma_f64 v[246:247], v[171:172], s[16:17], v[238:239]
	v_fma_f64 v[240:241], v[107:108], s[4:5], -v[240:241]
	v_mul_f64 v[224:225], v[117:118], s[10:11]
	v_add_f64 v[236:237], v[244:245], v[236:237]
	v_fma_f64 v[244:245], v[137:138], s[8:9], v[230:231]
	v_add_f64 v[216:217], v[216:217], v[218:219]
	v_mul_f64 v[218:219], v[183:184], s[26:27]
	v_add_f64 v[232:233], v[234:235], v[232:233]
	v_fma_f64 v[214:215], v[129:130], s[44:45], v[214:215]
	v_add_f64 v[220:221], v[246:247], v[220:221]
	v_fma_f64 v[246:247], v[189:190], s[42:43], v[226:227]
	v_mul_f64 v[117:118], v[117:118], s[22:23]
	v_add_f64 v[236:237], v[244:245], v[236:237]
	v_mul_f64 v[195:196], v[135:136], s[4:5]
	v_fma_f64 v[244:245], v[177:178], s[22:23], v[218:219]
	v_add_f64 v[232:233], v[240:241], v[232:233]
	v_fma_f64 v[240:241], v[115:116], s[28:29], -v[242:243]
	v_mul_f64 v[203:204], v[135:136], s[22:23]
	v_mul_f64 v[234:235], v[135:136], s[28:29]
	v_add_f64 v[248:249], v[214:215], v[216:217]
	v_add_f64 v[216:217], v[246:247], v[220:221]
	v_fma_f64 v[220:221], v[171:172], s[38:39], v[238:239]
	v_add_f64 v[214:215], v[244:245], v[236:237]
	v_mul_f64 v[105:106], v[105:106], s[26:27]
	v_fma_f64 v[230:231], v[137:138], s[8:9], -v[230:231]
	v_add_f64 v[232:233], v[240:241], v[232:233]
	v_mul_f64 v[135:136], v[135:136], s[24:25]
	v_fma_f64 v[236:237], v[94:95], s[42:43], v[117:118]
	v_fma_f64 v[226:227], v[189:190], s[26:27], v[226:227]
	v_add_f64 v[220:221], v[220:221], v[248:249]
	v_mul_f64 v[123:124], v[123:124], s[30:31]
	v_fma_f64 v[238:239], v[86:87], s[22:23], v[105:106]
	v_mul_f64 v[240:241], v[127:128], s[8:9]
	v_add_f64 v[230:231], v[230:231], v[232:233]
	v_fma_f64 v[232:233], v[109:110], s[36:37], v[135:136]
	v_add_f64 v[236:237], v[14:15], v[236:237]
	v_fma_f64 v[94:95], v[94:95], s[26:27], v[117:118]
	v_add_f64 v[220:221], v[226:227], v[220:221]
	v_mul_f64 v[155:156], v[155:156], s[38:39]
	v_fma_f64 v[226:227], v[96:97], s[24:25], v[123:124]
	v_add_f64 v[238:239], v[12:13], v[238:239]
	v_fma_f64 v[117:118], v[121:122], s[16:17], v[240:241]
	v_fma_f64 v[109:110], v[109:110], s[30:31], v[135:136]
	v_add_f64 v[232:233], v[232:233], v[236:237]
	v_mul_f64 v[236:237], v[131:132], s[10:11]
	v_add_f64 v[94:95], v[14:15], v[94:95]
	v_mul_f64 v[179:180], v[86:87], s[8:9]
	v_mul_f64 v[181:182], v[86:87], s[4:5]
	;; [unrolled: 1-line block ×3, first 2 shown]
	v_add_f64 v[226:227], v[226:227], v[238:239]
	v_fma_f64 v[238:239], v[107:108], s[8:9], v[155:156]
	v_mul_f64 v[151:152], v[151:152], s[20:21]
	v_add_f64 v[117:118], v[117:118], v[232:233]
	v_fma_f64 v[232:233], v[129:130], s[40:41], v[236:237]
	v_fma_f64 v[121:122], v[121:122], s[38:39], v[240:241]
	v_add_f64 v[94:95], v[109:110], v[94:95]
	v_fma_f64 v[86:87], v[86:87], s[22:23], -v[105:106]
	v_mul_f64 v[193:194], v[96:97], s[4:5]
	v_mul_f64 v[197:198], v[96:97], s[22:23]
	;; [unrolled: 1-line block ×3, first 2 shown]
	v_fma_f64 v[218:219], v[177:178], s[22:23], -v[218:219]
	v_add_f64 v[226:227], v[238:239], v[226:227]
	v_fma_f64 v[109:110], v[115:116], s[10:11], v[151:152]
	v_add_f64 v[117:118], v[232:233], v[117:118]
	v_mul_f64 v[232:233], v[161:162], s[28:29]
	v_fma_f64 v[129:130], v[129:130], s[20:21], v[236:237]
	v_add_f64 v[94:95], v[121:122], v[94:95]
	v_fma_f64 v[96:97], v[96:97], s[24:25], -v[123:124]
	v_add_f64 v[86:87], v[12:13], v[86:87]
	v_mul_f64 v[250:251], v[107:108], s[10:11]
	v_add_f64 v[218:219], v[218:219], v[230:231]
	v_mul_f64 v[230:231], v[107:108], s[28:29]
	v_mul_f64 v[135:136], v[107:108], s[22:23]
	v_add_f64 v[109:110], v[109:110], v[226:227]
	v_fma_f64 v[226:227], v[171:172], s[34:35], v[232:233]
	v_fma_f64 v[171:172], v[171:172], s[44:45], v[232:233]
	v_mul_f64 v[123:124], v[185:186], s[4:5]
	v_add_f64 v[94:95], v[129:130], v[94:95]
	v_fma_f64 v[107:108], v[107:108], s[8:9], -v[155:156]
	v_add_f64 v[86:87], v[96:97], v[86:87]
	v_mul_f64 v[238:239], v[115:116], s[22:23]
	v_mul_f64 v[105:106], v[115:116], s[24:25]
	;; [unrolled: 1-line block ×4, first 2 shown]
	v_fma_f64 v[96:97], v[189:190], s[14:15], v[123:124]
	v_fma_f64 v[123:124], v[189:190], s[46:47], v[123:124]
	v_add_f64 v[94:95], v[171:172], v[94:95]
	v_fma_f64 v[115:116], v[115:116], s[10:11], -v[151:152]
	v_add_f64 v[86:87], v[107:108], v[86:87]
	v_add_f64 v[201:202], v[201:202], v[224:225]
	;; [unrolled: 1-line block ×4, first 2 shown]
	v_mul_f64 v[242:243], v[127:128], s[10:11]
	v_mul_f64 v[244:245], v[127:128], s[28:29]
	;; [unrolled: 1-line block ×6, first 2 shown]
	v_fma_f64 v[151:152], v[137:138], s[28:29], v[145:146]
	v_fma_f64 v[137:138], v[137:138], s[28:29], -v[145:146]
	v_add_f64 v[115:116], v[115:116], v[86:87]
	v_add_f64 v[86:87], v[123:124], v[94:95]
	;; [unrolled: 1-line block ×7, first 2 shown]
	v_mul_f64 v[240:241], v[131:132], s[22:23]
	v_mul_f64 v[236:237], v[131:132], s[24:25]
	;; [unrolled: 1-line block ×3, first 2 shown]
	v_add_f64 v[115:116], v[137:138], v[115:116]
	v_add_f64 v[127:128], v[165:166], v[127:128]
	v_add_f64 v[137:138], v[191:192], -v[141:142]
	v_add_f64 v[94:95], v[94:95], v[123:124]
	v_add_f64 v[113:114], v[113:114], v[203:204]
	;; [unrolled: 1-line block ×5, first 2 shown]
	v_mul_f64 v[129:130], v[161:162], s[24:25]
	v_mul_f64 v[189:190], v[161:162], s[10:11]
	;; [unrolled: 1-line block ×3, first 2 shown]
	v_add_f64 v[20:21], v[169:170], v[131:132]
	v_add_f64 v[22:23], v[228:229], -v[143:144]
	v_add_f64 v[131:132], v[12:13], v[137:138]
	v_add_f64 v[94:95], v[127:128], v[94:95]
	v_add_f64 v[119:120], v[119:120], v[244:245]
	v_add_f64 v[113:114], v[113:114], v[123:124]
	v_add_f64 v[18:19], v[18:19], v[30:31]
	v_add_f64 v[16:17], v[16:17], v[28:29]
	v_add_f64 v[24:25], v[173:174], v[161:162]
	v_add_f64 v[26:27], v[135:136], -v[147:148]
	v_add_f64 v[22:23], v[22:23], v[131:132]
	v_add_f64 v[20:21], v[20:21], v[94:95]
	v_add_f64 v[94:95], v[139:140], v[236:237]
	v_add_f64 v[113:114], v[119:120], v[113:114]
	v_add_f64 v[18:19], v[18:19], v[34:35]
	v_add_f64 v[16:17], v[16:17], v[32:33]
	v_add_f64 v[70:71], v[70:71], v[187:188]
	v_add_f64 v[30:31], v[121:122], -v[153:154]
	v_add_f64 v[22:23], v[26:27], v[22:23]
	v_add_f64 v[20:21], v[24:25], v[20:21]
	v_add_f64 v[24:25], v[157:158], v[189:190]
	v_add_f64 v[26:27], v[94:95], v[113:114]
	v_add_f64 v[18:19], v[18:19], v[38:39]
	v_add_f64 v[16:17], v[16:17], v[36:37]
	v_add_f64 v[36:37], v[181:182], -v[98:99]
	v_add_f64 v[14:15], v[14:15], v[70:71]
	v_add_f64 v[70:71], v[193:194], -v[72:73]
	v_add_f64 v[38:39], v[197:198], -v[101:102]
	v_add_f64 v[109:110], v[151:152], v[109:110]
	v_add_f64 v[24:25], v[24:25], v[26:27]
	v_add_f64 v[26:27], v[179:180], -v[68:69]
	v_add_f64 v[18:19], v[18:19], v[42:43]
	v_add_f64 v[16:17], v[16:17], v[40:41]
	;; [unrolled: 1-line block ×4, first 2 shown]
	v_add_f64 v[42:43], v[250:251], -v[76:77]
	v_mul_f64 v[151:152], v[185:186], s[8:9]
	v_mul_f64 v[107:108], v[177:178], s[28:29]
	v_add_f64 v[26:27], v[12:13], v[26:27]
	v_add_f64 v[12:13], v[12:13], v[36:37]
	;; [unrolled: 1-line block ×5, first 2 shown]
	v_add_f64 v[36:37], v[230:231], -v[103:104]
	v_add_f64 v[44:45], v[82:83], v[240:241]
	v_mul_f64 v[224:225], v[185:186], s[28:29]
	v_add_f64 v[26:27], v[70:71], v[26:27]
	v_add_f64 v[12:13], v[38:39], v[12:13]
	;; [unrolled: 1-line block ×5, first 2 shown]
	v_add_f64 v[40:41], v[238:239], -v[80:81]
	v_add_f64 v[38:39], v[105:106], -v[111:112]
	v_mul_f64 v[185:186], v[185:186], s[24:25]
	v_add_f64 v[26:27], v[42:43], v[26:27]
	v_add_f64 v[12:13], v[36:37], v[12:13]
	;; [unrolled: 1-line block ×6, first 2 shown]
	v_add_f64 v[44:45], v[232:233], -v[84:85]
	v_add_f64 v[117:118], v[226:227], v[117:118]
	v_add_f64 v[26:27], v[40:41], v[26:27]
	v_mul_f64 v[226:227], v[177:178], s[8:9]
	v_add_f64 v[36:37], v[155:156], -v[125:126]
	v_add_f64 v[12:13], v[38:39], v[12:13]
	v_mul_f64 v[145:146], v[177:178], s[24:25]
	v_add_f64 v[34:35], v[171:172], -v[159:160]
	v_add_f64 v[22:23], v[30:31], v[22:23]
	v_mul_f64 v[183:184], v[183:184], s[46:47]
	v_add_f64 v[30:31], v[163:164], v[151:152]
	v_add_f64 v[48:49], v[18:19], v[58:59]
	;; [unrolled: 1-line block ×6, first 2 shown]
	v_add_f64 v[46:47], v[107:108], -v[90:91]
	v_add_f64 v[44:45], v[44:45], v[26:27]
	v_add_f64 v[38:39], v[226:227], -v[133:134]
	v_add_f64 v[12:13], v[36:37], v[12:13]
	;; [unrolled: 2-line block ×3, first 2 shown]
	v_fma_f64 v[246:247], v[177:178], s[4:5], v[183:184]
	v_fma_f64 v[177:178], v[177:178], s[4:5], -v[183:184]
	v_add_f64 v[18:19], v[30:31], v[24:25]
	v_add_f64 v[26:27], v[48:49], v[62:63]
	;; [unrolled: 1-line block ×9, first 2 shown]
	v_add_lshl_u32 v32, v209, v208, 4
	v_add_f64 v[30:31], v[96:97], v[117:118]
	v_add_f64 v[28:29], v[246:247], v[109:110]
	ds_write_b128 v32, v[24:27]
	ds_write_b128 v32, v[20:23] offset:16
	ds_write_b128 v32, v[16:19] offset:32
	;; [unrolled: 1-line block ×12, first 2 shown]
.LBB0_7:
	s_or_b64 exec, exec, s[18:19]
	v_mov_b32_e32 v13, s3
	s_movk_i32 s4, 0x90
	v_mov_b32_e32 v12, s2
	v_mad_u64_u32 v[48:49], s[2:3], v205, s4, v[12:13]
	s_load_dwordx4 s[0:3], s[0:1], 0x0
	s_waitcnt lgkmcnt(0)
	; wave barrier
	s_waitcnt lgkmcnt(0)
	global_load_dwordx4 v[28:31], v[48:49], off
	global_load_dwordx4 v[20:23], v[48:49], off offset:16
	global_load_dwordx4 v[16:19], v[48:49], off offset:32
	global_load_dwordx4 v[12:15], v[48:49], off offset:48
	global_load_dwordx4 v[40:43], v[48:49], off offset:64
	global_load_dwordx4 v[32:35], v[48:49], off offset:80
	global_load_dwordx4 v[24:27], v[48:49], off offset:96
	global_load_dwordx4 v[36:39], v[48:49], off offset:112
	global_load_dwordx4 v[44:47], v[48:49], off offset:128
	v_add_lshl_u32 v150, v209, v205, 4
	ds_read_b128 v[48:51], v150
	ds_read_b128 v[52:55], v150 offset:208
	ds_read_b128 v[56:59], v150 offset:416
	;; [unrolled: 1-line block ×9, first 2 shown]
	s_mov_b32 s4, 0x134454ff
	s_mov_b32 s5, 0x3fee6f0e
	;; [unrolled: 1-line block ×12, first 2 shown]
	v_lshl_add_u32 v149, v205, 4, v207
	s_waitcnt vmcnt(8) lgkmcnt(8)
	v_mul_f64 v[88:89], v[54:55], v[30:31]
	s_waitcnt vmcnt(7) lgkmcnt(7)
	v_mul_f64 v[92:93], v[58:59], v[22:23]
	v_mul_f64 v[94:95], v[56:57], v[22:23]
	s_waitcnt vmcnt(5) lgkmcnt(5)
	v_mul_f64 v[101:102], v[66:67], v[14:15]
	;; [unrolled: 3-line block ×4, first 2 shown]
	v_mul_f64 v[90:91], v[52:53], v[30:31]
	v_mul_f64 v[96:97], v[62:63], v[18:19]
	;; [unrolled: 1-line block ×7, first 2 shown]
	v_fma_f64 v[56:57], v[56:57], v[20:21], -v[92:93]
	v_fma_f64 v[58:59], v[58:59], v[20:21], v[94:95]
	v_fma_f64 v[64:65], v[64:65], v[12:13], -v[101:102]
	v_fma_f64 v[66:67], v[66:67], v[12:13], v[103:104]
	;; [unrolled: 2-line block ×3, first 2 shown]
	v_fma_f64 v[80:81], v[80:81], v[36:37], -v[117:118]
	v_mul_f64 v[115:116], v[76:77], v[26:27]
	s_waitcnt vmcnt(0) lgkmcnt(0)
	v_mul_f64 v[123:124], v[84:85], v[46:47]
	v_fma_f64 v[52:53], v[52:53], v[28:29], -v[88:89]
	v_fma_f64 v[54:55], v[54:55], v[28:29], v[90:91]
	v_fma_f64 v[60:61], v[60:61], v[16:17], -v[96:97]
	v_fma_f64 v[62:63], v[62:63], v[16:17], v[98:99]
	v_fma_f64 v[68:69], v[68:69], v[40:41], -v[105:106]
	v_fma_f64 v[70:71], v[70:71], v[40:41], v[107:108]
	v_fma_f64 v[82:83], v[82:83], v[36:37], v[119:120]
	v_fma_f64 v[76:77], v[76:77], v[24:25], -v[113:114]
	v_add_f64 v[88:89], v[48:49], v[56:57]
	v_add_f64 v[90:91], v[64:65], v[72:73]
	v_add_f64 v[96:97], v[56:57], -v[64:65]
	v_add_f64 v[98:99], v[80:81], -v[72:73]
	v_add_f64 v[101:102], v[56:57], v[80:81]
	v_add_f64 v[107:108], v[50:51], v[58:59]
	;; [unrolled: 1-line block ×3, first 2 shown]
	v_mul_f64 v[121:122], v[86:87], v[46:47]
	v_fma_f64 v[86:87], v[86:87], v[44:45], v[123:124]
	v_add_f64 v[92:93], v[58:59], -v[82:83]
	v_add_f64 v[94:95], v[66:67], -v[74:75]
	;; [unrolled: 1-line block ×7, first 2 shown]
	v_add_f64 v[117:118], v[58:59], v[82:83]
	v_add_f64 v[58:59], v[66:67], -v[58:59]
	v_add_f64 v[123:124], v[68:69], v[76:77]
	v_add_f64 v[64:65], v[88:89], v[64:65]
	v_fma_f64 v[88:89], v[90:91], -0.5, v[48:49]
	v_add_f64 v[90:91], v[96:97], v[98:99]
	v_fma_f64 v[48:49], v[101:102], -0.5, v[48:49]
	;; [unrolled: 2-line block ×3, first 2 shown]
	v_fma_f64 v[78:79], v[78:79], v[24:25], v[115:116]
	v_fma_f64 v[84:85], v[84:85], v[44:45], -v[121:122]
	v_add_f64 v[115:116], v[82:83], -v[74:75]
	v_add_f64 v[119:120], v[74:75], -v[82:83]
	v_add_f64 v[121:122], v[52:53], v[60:61]
	v_add_f64 v[125:126], v[62:63], -v[86:87]
	v_add_f64 v[96:97], v[103:104], v[105:106]
	v_fma_f64 v[50:51], v[117:118], -0.5, v[50:51]
	v_fma_f64 v[105:106], v[123:124], -0.5, v[52:53]
	v_add_f64 v[64:65], v[64:65], v[72:73]
	v_fma_f64 v[72:73], v[92:93], s[4:5], v[88:89]
	v_fma_f64 v[88:89], v[92:93], s[14:15], v[88:89]
	;; [unrolled: 1-line block ×4, first 2 shown]
	v_add_f64 v[66:67], v[66:67], v[74:75]
	v_fma_f64 v[74:75], v[56:57], s[14:15], v[98:99]
	v_fma_f64 v[98:99], v[56:57], s[4:5], v[98:99]
	v_add_f64 v[127:128], v[70:71], -v[78:79]
	v_add_f64 v[129:130], v[60:61], -v[68:69]
	;; [unrolled: 1-line block ×3, first 2 shown]
	v_add_f64 v[133:134], v[60:61], v[84:85]
	v_add_f64 v[101:102], v[113:114], v[115:116]
	;; [unrolled: 1-line block ×3, first 2 shown]
	v_fma_f64 v[109:110], v[111:112], s[4:5], v[50:51]
	v_fma_f64 v[50:51], v[111:112], s[14:15], v[50:51]
	;; [unrolled: 1-line block ×3, first 2 shown]
	v_add_f64 v[80:81], v[64:65], v[80:81]
	v_fma_f64 v[64:65], v[94:95], s[8:9], v[72:73]
	v_fma_f64 v[72:73], v[94:95], s[16:17], v[88:89]
	;; [unrolled: 1-line block ×4, first 2 shown]
	v_add_f64 v[82:83], v[66:67], v[82:83]
	v_fma_f64 v[66:67], v[111:112], s[8:9], v[98:99]
	v_fma_f64 v[74:75], v[111:112], s[16:17], v[74:75]
	v_fma_f64 v[92:93], v[56:57], s[16:17], v[109:110]
	v_fma_f64 v[94:95], v[90:91], s[10:11], v[64:65]
	v_fma_f64 v[52:53], v[133:134], -0.5, v[52:53]
	v_fma_f64 v[88:89], v[96:97], s[10:11], v[88:89]
	v_fma_f64 v[96:97], v[96:97], s[10:11], v[48:49]
	v_add_f64 v[48:49], v[58:59], v[119:120]
	v_fma_f64 v[98:99], v[101:102], s[10:11], v[66:67]
	v_fma_f64 v[50:51], v[56:57], s[8:9], v[50:51]
	v_add_f64 v[56:57], v[103:104], v[76:77]
	v_fma_f64 v[58:59], v[127:128], s[8:9], v[113:114]
	v_add_f64 v[64:65], v[129:130], v[131:132]
	v_add_f64 v[66:67], v[70:71], v[78:79]
	v_fma_f64 v[90:91], v[90:91], s[10:11], v[72:73]
	v_fma_f64 v[74:75], v[101:102], s[10:11], v[74:75]
	;; [unrolled: 1-line block ×6, first 2 shown]
	v_add_f64 v[105:106], v[56:57], v[84:85]
	v_add_f64 v[48:49], v[62:63], v[86:87]
	v_fma_f64 v[50:51], v[64:65], s[10:11], v[58:59]
	v_fma_f64 v[56:57], v[66:67], -0.5, v[54:55]
	v_add_f64 v[58:59], v[60:61], -v[84:85]
	v_fma_f64 v[66:67], v[127:128], s[16:17], v[72:73]
	v_fma_f64 v[72:73], v[125:126], s[8:9], v[101:102]
	v_add_f64 v[101:102], v[54:55], v[62:63]
	v_add_f64 v[107:108], v[68:69], -v[76:77]
	v_fma_f64 v[48:49], v[48:49], -0.5, v[54:55]
	v_add_f64 v[54:55], v[68:69], -v[60:61]
	v_add_f64 v[60:61], v[76:77], -v[84:85]
	v_fma_f64 v[68:69], v[58:59], s[14:15], v[56:57]
	v_add_f64 v[76:77], v[62:63], -v[70:71]
	v_add_f64 v[84:85], v[86:87], -v[78:79]
	v_fma_f64 v[52:53], v[127:128], s[4:5], v[52:53]
	v_add_f64 v[101:102], v[101:102], v[70:71]
	v_fma_f64 v[109:110], v[107:108], s[4:5], v[48:49]
	v_add_f64 v[62:63], v[70:71], -v[62:63]
	v_add_f64 v[70:71], v[78:79], -v[86:87]
	v_fma_f64 v[68:69], v[107:108], s[16:17], v[68:69]
	v_fma_f64 v[56:57], v[58:59], s[4:5], v[56:57]
	v_add_f64 v[76:77], v[76:77], v[84:85]
	v_fma_f64 v[48:49], v[107:108], s[14:15], v[48:49]
	v_add_f64 v[54:55], v[54:55], v[60:61]
	v_fma_f64 v[52:53], v[125:126], s[16:17], v[52:53]
	v_fma_f64 v[60:61], v[58:59], s[16:17], v[109:110]
	v_add_f64 v[62:63], v[62:63], v[70:71]
	v_add_f64 v[70:71], v[101:102], v[78:79]
	v_fma_f64 v[56:57], v[107:108], s[8:9], v[56:57]
	v_fma_f64 v[68:69], v[76:77], s[10:11], v[68:69]
	;; [unrolled: 1-line block ×7, first 2 shown]
	v_add_f64 v[70:71], v[70:71], v[86:87]
	v_fma_f64 v[52:53], v[76:77], s[10:11], v[56:57]
	v_mul_f64 v[56:57], v[68:69], s[8:9]
	v_fma_f64 v[62:63], v[62:63], s[10:11], v[48:49]
	v_mul_f64 v[76:77], v[58:59], s[18:19]
	v_add_f64 v[48:49], v[80:81], v[105:106]
	v_mul_f64 v[72:73], v[54:55], s[10:11]
	v_mul_f64 v[66:67], v[60:61], s[4:5]
	;; [unrolled: 1-line block ×3, first 2 shown]
	v_fma_f64 v[78:79], v[50:51], s[18:19], v[56:57]
	v_mul_f64 v[50:51], v[50:51], s[16:17]
	v_mul_f64 v[56:57], v[64:65], s[14:15]
	;; [unrolled: 1-line block ×3, first 2 shown]
	v_fma_f64 v[107:108], v[62:63], s[4:5], -v[72:73]
	v_fma_f64 v[101:102], v[64:65], s[10:11], v[66:67]
	v_fma_f64 v[109:110], v[52:53], s[8:9], -v[76:77]
	v_fma_f64 v[86:87], v[58:59], s[16:17], -v[86:87]
	v_add_f64 v[52:53], v[94:95], v[78:79]
	v_fma_f64 v[111:112], v[68:69], s[18:19], v[50:51]
	v_fma_f64 v[113:114], v[60:61], s[10:11], v[56:57]
	v_fma_f64 v[115:116], v[54:55], s[14:15], -v[84:85]
	v_add_f64 v[60:61], v[96:97], v[107:108]
	v_add_f64 v[56:57], v[88:89], v[101:102]
	;; [unrolled: 1-line block ×8, first 2 shown]
	v_add_f64 v[68:69], v[80:81], -v[105:106]
	v_add_f64 v[72:73], v[94:95], -v[78:79]
	;; [unrolled: 1-line block ×10, first 2 shown]
	ds_write_b128 v149, v[48:51]
	ds_write_b128 v149, v[52:55] offset:208
	ds_write_b128 v149, v[56:59] offset:416
	;; [unrolled: 1-line block ×9, first 2 shown]
	s_waitcnt lgkmcnt(0)
	; wave barrier
	s_waitcnt lgkmcnt(0)
	s_and_saveexec_b64 s[4:5], vcc
	s_cbranch_execz .LBB0_9
; %bb.8:
	global_load_dwordx4 v[88:91], v206, s[12:13] offset:2080
	s_add_u32 s8, s12, 0x820
	s_addc_u32 s9, s13, 0
	global_load_dwordx4 v[92:95], v206, s[8:9] offset:160
	global_load_dwordx4 v[96:99], v206, s[8:9] offset:320
	;; [unrolled: 1-line block ×12, first 2 shown]
	ds_read_b128 v[141:144], v149
	ds_read_b128 v[145:148], v149 offset:160
	ds_read_b128 v[151:154], v149 offset:320
	;; [unrolled: 1-line block ×12, first 2 shown]
	s_waitcnt vmcnt(11) lgkmcnt(11)
	v_mul_f64 v[197:198], v[147:148], v[94:95]
	v_mul_f64 v[94:95], v[145:146], v[94:95]
	s_waitcnt vmcnt(10) lgkmcnt(10)
	v_mul_f64 v[199:200], v[153:154], v[98:99]
	v_mul_f64 v[98:99], v[151:152], v[98:99]
	;; [unrolled: 3-line block ×4, first 2 shown]
	v_mul_f64 v[195:196], v[143:144], v[90:91]
	v_mul_f64 v[90:91], v[141:142], v[90:91]
	s_waitcnt vmcnt(7) lgkmcnt(7)
	v_mul_f64 v[209:210], v[165:166], v[111:112]
	v_mul_f64 v[111:112], v[163:164], v[111:112]
	s_waitcnt vmcnt(6) lgkmcnt(6)
	;; [unrolled: 3-line block ×8, first 2 shown]
	v_mul_f64 v[223:224], v[193:194], v[139:140]
	v_mul_f64 v[225:226], v[191:192], v[139:140]
	v_fma_f64 v[139:140], v[141:142], v[88:89], -v[195:196]
	v_fma_f64 v[141:142], v[143:144], v[88:89], v[90:91]
	v_fma_f64 v[88:89], v[145:146], v[92:93], -v[197:198]
	v_fma_f64 v[90:91], v[147:148], v[92:93], v[94:95]
	;; [unrolled: 2-line block ×13, first 2 shown]
	ds_write_b128 v149, v[139:142]
	ds_write_b128 v149, v[88:91] offset:160
	ds_write_b128 v149, v[92:95] offset:320
	;; [unrolled: 1-line block ×12, first 2 shown]
.LBB0_9:
	s_or_b64 exec, exec, s[4:5]
	s_waitcnt lgkmcnt(0)
	; wave barrier
	s_waitcnt lgkmcnt(0)
	s_and_saveexec_b64 s[4:5], vcc
	s_cbranch_execz .LBB0_11
; %bb.10:
	ds_read_b128 v[48:51], v149
	ds_read_b128 v[52:55], v149 offset:160
	ds_read_b128 v[56:59], v149 offset:320
	;; [unrolled: 1-line block ×12, first 2 shown]
.LBB0_11:
	s_or_b64 exec, exec, s[4:5]
	s_waitcnt lgkmcnt(0)
	; wave barrier
	s_waitcnt lgkmcnt(0)
	s_and_saveexec_b64 s[4:5], vcc
	s_cbranch_execz .LBB0_13
; %bb.12:
	v_add_f64 v[147:148], v[52:53], -v[8:9]
	s_mov_b32 s18, 0x4bc48dbf
	s_mov_b32 s19, 0xbfcea1e5
	v_add_f64 v[145:146], v[56:57], -v[4:5]
	v_add_f64 v[115:116], v[54:55], v[10:11]
	s_mov_b32 s16, 0x93053d00
	s_mov_b32 s21, 0x3fddbe06
	;; [unrolled: 1-line block ×3, first 2 shown]
	v_mul_f64 v[96:97], v[147:148], s[18:19]
	s_mov_b32 s17, 0xbfef11f4
	v_add_f64 v[119:120], v[60:61], -v[0:1]
	v_mul_f64 v[98:99], v[145:146], s[20:21]
	v_add_f64 v[111:112], v[58:59], v[6:7]
	v_add_f64 v[127:128], v[54:55], -v[10:11]
	s_mov_b32 s26, 0x24c2f84
	s_mov_b32 s22, 0xe00740e9
	v_fma_f64 v[117:118], v[115:116], s[16:17], v[96:97]
	s_mov_b32 s27, 0xbfe5384d
	s_mov_b32 s23, 0x3fec55a7
	v_add_f64 v[109:110], v[64:65], -v[84:85]
	v_mul_f64 v[131:132], v[119:120], s[26:27]
	v_add_f64 v[113:114], v[62:63], v[2:3]
	v_fma_f64 v[121:122], v[111:112], s[22:23], v[98:99]
	v_add_f64 v[125:126], v[58:59], -v[6:7]
	v_add_f64 v[129:130], v[50:51], v[117:118]
	v_add_f64 v[123:124], v[52:53], v[8:9]
	v_mul_f64 v[137:138], v[127:128], s[18:19]
	s_mov_b32 s38, 0x42a4c3d2
	s_mov_b32 s39, 0x3fea55e2
	v_mul_f64 v[94:95], v[109:110], s[38:39]
	v_add_f64 v[117:118], v[66:67], v[86:87]
	v_fma_f64 v[133:134], v[113:114], s[24:25], v[131:132]
	v_add_f64 v[135:136], v[121:122], v[129:130]
	v_add_f64 v[129:130], v[62:63], -v[2:3]
	v_add_f64 v[121:122], v[56:57], v[4:5]
	v_mul_f64 v[151:152], v[125:126], s[20:21]
	v_fma_f64 v[141:142], v[123:124], s[16:17], -v[137:138]
	v_fma_f64 v[96:97], v[115:116], s[16:17], -v[96:97]
	s_mov_b32 s28, 0x1ea71119
	s_mov_b32 s29, 0x3fe22d96
	v_add_f64 v[107:108], v[68:69], -v[80:81]
	v_fma_f64 v[143:144], v[117:118], s[28:29], v[94:95]
	v_add_f64 v[133:134], v[133:134], v[135:136]
	v_add_f64 v[139:140], v[66:67], -v[86:87]
	v_add_f64 v[135:136], v[60:61], v[0:1]
	v_mul_f64 v[153:154], v[129:130], s[26:27]
	v_fma_f64 v[155:156], v[121:122], s[22:23], -v[151:152]
	v_add_f64 v[157:158], v[48:49], v[141:142]
	v_fma_f64 v[98:99], v[111:112], s[22:23], -v[98:99]
	v_add_f64 v[96:97], v[50:51], v[96:97]
	s_mov_b32 s14, 0x2ef20147
	s_mov_b32 s15, 0xbfedeba7
	v_add_f64 v[105:106], v[72:73], -v[76:77]
	v_add_f64 v[103:104], v[70:71], v[82:83]
	v_mul_f64 v[88:89], v[107:108], s[14:15]
	v_add_f64 v[159:160], v[143:144], v[133:134]
	v_add_f64 v[141:142], v[70:71], -v[82:83]
	v_add_f64 v[133:134], v[64:65], v[84:85]
	v_mul_f64 v[161:162], v[139:140], s[38:39]
	v_fma_f64 v[163:164], v[135:136], s[24:25], -v[153:154]
	v_add_f64 v[155:156], v[155:156], v[157:158]
	v_fma_f64 v[157:158], v[113:114], s[24:25], -v[131:132]
	v_add_f64 v[96:97], v[98:99], v[96:97]
	v_fma_f64 v[167:168], v[123:124], s[16:17], v[137:138]
	s_mov_b32 s30, 0x66966769
	s_mov_b32 s10, 0xb2365da1
	s_mov_b32 s31, 0x3fefc445
	s_mov_b32 s11, 0xbfd6b1d8
	v_add_f64 v[101:102], v[74:75], v[78:79]
	v_mul_f64 v[90:91], v[105:106], s[30:31]
	v_fma_f64 v[92:93], v[103:104], s[10:11], v[88:89]
	v_add_f64 v[143:144], v[74:75], -v[78:79]
	v_add_f64 v[131:132], v[68:69], v[80:81]
	v_mul_f64 v[98:99], v[141:142], s[14:15]
	v_fma_f64 v[165:166], v[133:134], s[28:29], -v[161:162]
	v_add_f64 v[155:156], v[163:164], v[155:156]
	v_fma_f64 v[94:95], v[117:118], s[28:29], -v[94:95]
	v_add_f64 v[96:97], v[157:158], v[96:97]
	v_fma_f64 v[151:152], v[121:122], s[22:23], v[151:152]
	v_add_f64 v[167:168], v[48:49], v[167:168]
	s_mov_b32 s8, 0xebaa3ed8
	s_mov_b32 s9, 0x3fbedb7d
	v_add_f64 v[137:138], v[72:73], v[76:77]
	v_mul_f64 v[157:158], v[143:144], s[30:31]
	v_fma_f64 v[163:164], v[131:132], s[10:11], -v[98:99]
	v_add_f64 v[155:156], v[165:166], v[155:156]
	v_add_f64 v[94:95], v[94:95], v[96:97]
	v_fma_f64 v[96:97], v[101:102], s[8:9], v[90:91]
	v_add_f64 v[92:93], v[92:93], v[159:160]
	v_fma_f64 v[153:154], v[135:136], s[24:25], v[153:154]
	v_add_f64 v[151:152], v[151:152], v[167:168]
	v_mul_f64 v[165:166], v[147:148], s[26:27]
	v_fma_f64 v[88:89], v[103:104], s[10:11], -v[88:89]
	v_fma_f64 v[159:160], v[137:138], s[8:9], -v[157:158]
	v_add_f64 v[155:156], v[163:164], v[155:156]
	v_fma_f64 v[163:164], v[101:102], s[8:9], -v[90:91]
	v_add_f64 v[90:91], v[96:97], v[92:93]
	v_mul_f64 v[96:97], v[145:146], s[30:31]
	v_add_f64 v[151:152], v[153:154], v[151:152]
	v_fma_f64 v[153:154], v[115:116], s[24:25], v[165:166]
	v_fma_f64 v[165:166], v[115:116], s[24:25], -v[165:166]
	s_mov_b32 s35, 0xbfea55e2
	s_mov_b32 s34, s38
	v_add_f64 v[94:95], v[88:89], v[94:95]
	v_fma_f64 v[161:162], v[133:134], s[28:29], v[161:162]
	v_add_f64 v[88:89], v[159:160], v[155:156]
	v_fma_f64 v[92:93], v[137:138], s[8:9], v[157:158]
	v_mul_f64 v[155:156], v[127:128], s[26:27]
	v_mul_f64 v[157:158], v[119:120], s[34:35]
	v_fma_f64 v[159:160], v[111:112], s[8:9], v[96:97]
	v_add_f64 v[153:154], v[50:51], v[153:154]
	v_fma_f64 v[96:97], v[111:112], s[8:9], -v[96:97]
	v_add_f64 v[165:166], v[50:51], v[165:166]
	s_mov_b32 s43, 0x3fcea1e5
	s_mov_b32 s42, s18
	v_add_f64 v[94:95], v[163:164], v[94:95]
	v_add_f64 v[151:152], v[161:162], v[151:152]
	v_mul_f64 v[161:162], v[125:126], s[30:31]
	v_fma_f64 v[163:164], v[123:124], s[24:25], -v[155:156]
	v_mul_f64 v[167:168], v[109:110], s[42:43]
	v_fma_f64 v[169:170], v[113:114], s[28:29], v[157:158]
	v_add_f64 v[153:154], v[159:160], v[153:154]
	v_fma_f64 v[157:158], v[113:114], s[28:29], -v[157:158]
	v_add_f64 v[96:97], v[96:97], v[165:166]
	v_mul_f64 v[159:160], v[107:108], s[20:21]
	v_mul_f64 v[171:172], v[129:130], s[34:35]
	v_fma_f64 v[173:174], v[121:122], s[8:9], -v[161:162]
	v_add_f64 v[163:164], v[48:49], v[163:164]
	v_fma_f64 v[175:176], v[117:118], s[16:17], v[167:168]
	v_add_f64 v[153:154], v[169:170], v[153:154]
	v_fma_f64 v[167:168], v[117:118], s[16:17], -v[167:168]
	v_add_f64 v[96:97], v[157:158], v[96:97]
	v_fma_f64 v[155:156], v[123:124], s[24:25], v[155:156]
	v_fma_f64 v[98:99], v[131:132], s[10:11], v[98:99]
	v_mul_f64 v[169:170], v[105:106], s[14:15]
	v_mul_f64 v[177:178], v[139:140], s[42:43]
	v_fma_f64 v[179:180], v[135:136], s[28:29], -v[171:172]
	v_add_f64 v[163:164], v[173:174], v[163:164]
	v_fma_f64 v[173:174], v[103:104], s[22:23], v[159:160]
	v_add_f64 v[153:154], v[175:176], v[153:154]
	v_fma_f64 v[159:160], v[103:104], s[22:23], -v[159:160]
	v_add_f64 v[96:97], v[167:168], v[96:97]
	v_fma_f64 v[161:162], v[121:122], s[8:9], v[161:162]
	v_add_f64 v[155:156], v[48:49], v[155:156]
	v_add_f64 v[98:99], v[98:99], v[151:152]
	v_mul_f64 v[151:152], v[141:142], s[20:21]
	v_fma_f64 v[165:166], v[133:134], s[16:17], -v[177:178]
	v_add_f64 v[163:164], v[179:180], v[163:164]
	v_fma_f64 v[175:176], v[101:102], s[10:11], v[169:170]
	v_add_f64 v[153:154], v[173:174], v[153:154]
	v_mul_f64 v[167:168], v[147:148], s[14:15]
	v_add_f64 v[159:160], v[159:160], v[96:97]
	v_fma_f64 v[96:97], v[135:136], s[28:29], v[171:172]
	v_add_f64 v[155:156], v[161:162], v[155:156]
	v_mul_f64 v[161:162], v[127:128], s[14:15]
	s_mov_b32 s41, 0x3fe5384d
	s_mov_b32 s40, s26
	v_fma_f64 v[173:174], v[131:132], s[22:23], -v[151:152]
	v_add_f64 v[163:164], v[165:166], v[163:164]
	v_add_f64 v[92:93], v[92:93], v[98:99]
	;; [unrolled: 1-line block ×3, first 2 shown]
	v_fma_f64 v[165:166], v[101:102], s[10:11], -v[169:170]
	v_mul_f64 v[169:170], v[145:146], s[40:41]
	v_fma_f64 v[171:172], v[115:116], s[10:11], v[167:168]
	v_add_f64 v[96:97], v[96:97], v[155:156]
	v_mul_f64 v[175:176], v[125:126], s[40:41]
	v_fma_f64 v[155:156], v[123:124], s[10:11], -v[161:162]
	v_fma_f64 v[167:168], v[115:116], s[10:11], -v[167:168]
	v_add_f64 v[163:164], v[173:174], v[163:164]
	v_fma_f64 v[173:174], v[133:134], s[16:17], v[177:178]
	v_mul_f64 v[177:178], v[119:120], s[20:21]
	v_fma_f64 v[179:180], v[111:112], s[24:25], v[169:170]
	v_add_f64 v[171:172], v[50:51], v[171:172]
	v_mul_f64 v[181:182], v[129:130], s[20:21]
	v_fma_f64 v[183:184], v[121:122], s[24:25], -v[175:176]
	v_add_f64 v[155:156], v[48:49], v[155:156]
	v_fma_f64 v[169:170], v[111:112], s[24:25], -v[169:170]
	v_add_f64 v[167:168], v[50:51], v[167:168]
	s_mov_b32 s37, 0xbfefc445
	s_mov_b32 s36, s30
	v_mul_f64 v[157:158], v[143:144], s[14:15]
	v_mul_f64 v[185:186], v[109:110], s[36:37]
	v_fma_f64 v[187:188], v[113:114], s[22:23], v[177:178]
	v_add_f64 v[171:172], v[179:180], v[171:172]
	v_add_f64 v[96:97], v[173:174], v[96:97]
	v_mul_f64 v[173:174], v[139:140], s[36:37]
	v_fma_f64 v[179:180], v[135:136], s[22:23], -v[181:182]
	v_add_f64 v[155:156], v[183:184], v[155:156]
	v_fma_f64 v[177:178], v[113:114], s[22:23], -v[177:178]
	v_add_f64 v[167:168], v[169:170], v[167:168]
	v_fma_f64 v[153:154], v[137:138], s[10:11], -v[157:158]
	v_fma_f64 v[151:152], v[131:132], s[22:23], v[151:152]
	v_mul_f64 v[183:184], v[107:108], s[42:43]
	v_fma_f64 v[189:190], v[117:118], s[8:9], v[185:186]
	v_add_f64 v[171:172], v[187:188], v[171:172]
	v_mul_f64 v[187:188], v[141:142], s[42:43]
	v_fma_f64 v[191:192], v[133:134], s[8:9], -v[173:174]
	v_add_f64 v[155:156], v[179:180], v[155:156]
	v_fma_f64 v[185:186], v[117:118], s[8:9], -v[185:186]
	v_add_f64 v[167:168], v[177:178], v[167:168]
	v_mul_f64 v[179:180], v[105:106], s[38:39]
	v_fma_f64 v[193:194], v[103:104], s[16:17], v[183:184]
	v_add_f64 v[171:172], v[189:190], v[171:172]
	v_mul_f64 v[169:170], v[143:144], s[38:39]
	v_fma_f64 v[189:190], v[131:132], s[16:17], -v[187:188]
	v_add_f64 v[155:156], v[191:192], v[155:156]
	v_add_f64 v[151:152], v[151:152], v[96:97]
	;; [unrolled: 1-line block ×4, first 2 shown]
	v_fma_f64 v[159:160], v[123:124], s[10:11], v[161:162]
	v_fma_f64 v[161:162], v[103:104], s[16:17], -v[183:184]
	v_add_f64 v[163:164], v[185:186], v[167:168]
	v_fma_f64 v[157:158], v[137:138], s[10:11], v[157:158]
	v_fma_f64 v[191:192], v[101:102], s[28:29], v[179:180]
	v_add_f64 v[171:172], v[193:194], v[171:172]
	v_fma_f64 v[177:178], v[137:138], s[28:29], -v[169:170]
	v_add_f64 v[155:156], v[189:190], v[155:156]
	v_fma_f64 v[165:166], v[121:122], s[24:25], v[175:176]
	v_mul_f64 v[167:168], v[147:148], s[36:37]
	v_add_f64 v[159:160], v[48:49], v[159:160]
	v_add_f64 v[161:162], v[161:162], v[163:164]
	v_fma_f64 v[163:164], v[133:134], s[8:9], v[173:174]
	v_mul_f64 v[173:174], v[127:128], s[36:37]
	v_add_f64 v[151:152], v[157:158], v[151:152]
	v_add_f64 v[157:158], v[191:192], v[171:172]
	;; [unrolled: 1-line block ×3, first 2 shown]
	v_fma_f64 v[171:172], v[101:102], s[28:29], -v[179:180]
	v_fma_f64 v[175:176], v[135:136], s[22:23], v[181:182]
	v_mul_f64 v[177:178], v[145:146], s[18:19]
	v_fma_f64 v[179:180], v[115:116], s[8:9], v[167:168]
	v_add_f64 v[159:160], v[165:166], v[159:160]
	v_mul_f64 v[181:182], v[125:126], s[18:19]
	v_fma_f64 v[165:166], v[123:124], s[8:9], -v[173:174]
	s_mov_b32 s39, 0x3fedeba7
	s_mov_b32 s38, s14
	v_mul_f64 v[183:184], v[119:120], s[38:39]
	v_fma_f64 v[185:186], v[111:112], s[16:17], v[177:178]
	v_add_f64 v[179:180], v[50:51], v[179:180]
	v_add_f64 v[159:160], v[175:176], v[159:160]
	v_fma_f64 v[175:176], v[131:132], s[16:17], v[187:188]
	v_mul_f64 v[187:188], v[129:130], s[38:39]
	v_fma_f64 v[189:190], v[121:122], s[16:17], -v[181:182]
	v_add_f64 v[165:166], v[48:49], v[165:166]
	v_mul_f64 v[191:192], v[109:110], s[20:21]
	v_fma_f64 v[193:194], v[113:114], s[10:11], v[183:184]
	v_add_f64 v[179:180], v[185:186], v[179:180]
	v_add_f64 v[159:160], v[163:164], v[159:160]
	v_mul_f64 v[185:186], v[139:140], s[20:21]
	v_fma_f64 v[163:164], v[135:136], s[10:11], -v[187:188]
	v_fma_f64 v[167:168], v[115:116], s[8:9], -v[167:168]
	v_add_f64 v[165:166], v[189:190], v[165:166]
	v_mul_f64 v[189:190], v[107:108], s[34:35]
	v_fma_f64 v[195:196], v[117:118], s[22:23], v[191:192]
	v_add_f64 v[179:180], v[193:194], v[179:180]
	v_mul_f64 v[193:194], v[141:142], s[34:35]
	v_fma_f64 v[197:198], v[133:134], s[22:23], -v[185:186]
	v_fma_f64 v[177:178], v[111:112], s[16:17], -v[177:178]
	v_add_f64 v[167:168], v[50:51], v[167:168]
	v_add_f64 v[163:164], v[163:164], v[165:166]
	v_mul_f64 v[199:200], v[105:106], s[26:27]
	v_fma_f64 v[165:166], v[103:104], s[28:29], v[189:190]
	v_add_f64 v[179:180], v[195:196], v[179:180]
	v_mul_f64 v[195:196], v[143:144], s[26:27]
	v_fma_f64 v[201:202], v[131:132], s[28:29], -v[193:194]
	v_fma_f64 v[183:184], v[113:114], s[10:11], -v[183:184]
	v_add_f64 v[167:168], v[177:178], v[167:168]
	v_add_f64 v[163:164], v[197:198], v[163:164]
	v_fma_f64 v[169:170], v[137:138], s[28:29], v[169:170]
	v_add_f64 v[159:160], v[175:176], v[159:160]
	v_fma_f64 v[175:176], v[101:102], s[24:25], v[199:200]
	v_add_f64 v[165:166], v[165:166], v[179:180]
	v_fma_f64 v[177:178], v[137:138], s[24:25], -v[195:196]
	v_fma_f64 v[179:180], v[117:118], s[22:23], -v[191:192]
	v_add_f64 v[167:168], v[183:184], v[167:168]
	v_add_f64 v[163:164], v[201:202], v[163:164]
	;; [unrolled: 1-line block ×4, first 2 shown]
	v_fma_f64 v[169:170], v[123:124], s[8:9], v[173:174]
	v_mul_f64 v[173:174], v[147:148], s[34:35]
	v_add_f64 v[165:166], v[175:176], v[165:166]
	v_fma_f64 v[171:172], v[103:104], s[28:29], -v[189:190]
	v_add_f64 v[167:168], v[179:180], v[167:168]
	v_add_f64 v[163:164], v[177:178], v[163:164]
	v_fma_f64 v[175:176], v[121:122], s[16:17], v[181:182]
	v_mul_f64 v[177:178], v[127:128], s[34:35]
	v_add_f64 v[169:170], v[48:49], v[169:170]
	v_mul_f64 v[181:182], v[145:146], s[14:15]
	v_fma_f64 v[183:184], v[115:116], s[28:29], v[173:174]
	v_add_f64 v[54:55], v[50:51], v[54:55]
	v_add_f64 v[167:168], v[171:172], v[167:168]
	v_fma_f64 v[171:172], v[135:136], s[10:11], v[187:188]
	v_mul_f64 v[187:188], v[125:126], s[14:15]
	v_fma_f64 v[189:190], v[123:124], s[28:29], -v[177:178]
	v_add_f64 v[169:170], v[175:176], v[169:170]
	v_mul_f64 v[175:176], v[119:120], s[18:19]
	v_fma_f64 v[191:192], v[111:112], s[10:11], v[181:182]
	v_add_f64 v[183:184], v[50:51], v[183:184]
	v_add_f64 v[52:53], v[48:49], v[52:53]
	v_fma_f64 v[179:180], v[101:102], s[24:25], -v[199:200]
	v_mul_f64 v[197:198], v[129:130], s[18:19]
	v_fma_f64 v[199:200], v[121:122], s[10:11], -v[187:188]
	v_add_f64 v[189:190], v[48:49], v[189:190]
	v_add_f64 v[169:170], v[171:172], v[169:170]
	v_mul_f64 v[171:172], v[109:110], s[40:41]
	v_fma_f64 v[201:202], v[113:114], s[16:17], v[175:176]
	v_add_f64 v[183:184], v[191:192], v[183:184]
	v_add_f64 v[54:55], v[54:55], v[58:59]
	;; [unrolled: 1-line block ×3, first 2 shown]
	v_fma_f64 v[203:204], v[135:136], s[16:17], -v[197:198]
	v_add_f64 v[189:190], v[199:200], v[189:190]
	v_fma_f64 v[173:174], v[115:116], s[28:29], -v[173:174]
	v_fma_f64 v[199:200], v[117:118], s[24:25], v[171:172]
	v_fma_f64 v[181:182], v[111:112], s[10:11], -v[181:182]
	v_add_f64 v[183:184], v[201:202], v[183:184]
	v_add_f64 v[54:55], v[54:55], v[62:63]
	;; [unrolled: 1-line block ×3, first 2 shown]
	v_fma_f64 v[177:178], v[123:124], s[28:29], v[177:178]
	v_add_f64 v[189:190], v[203:204], v[189:190]
	v_mul_f64 v[203:204], v[105:106], s[20:21]
	v_add_f64 v[173:174], v[50:51], v[173:174]
	v_fma_f64 v[175:176], v[113:114], s[16:17], -v[175:176]
	v_add_f64 v[183:184], v[199:200], v[183:184]
	v_mul_f64 v[199:200], v[143:144], s[20:21]
	s_mov_b32 s21, 0xbfddbe06
	v_add_f64 v[54:55], v[54:55], v[66:67]
	v_add_f64 v[64:65], v[52:53], v[64:65]
	v_mul_f64 v[147:148], v[147:148], s[20:21]
	v_add_f64 v[173:174], v[181:182], v[173:174]
	v_fma_f64 v[181:182], v[121:122], s[10:11], v[187:188]
	v_add_f64 v[177:178], v[48:49], v[177:178]
	v_mul_f64 v[145:146], v[145:146], s[34:35]
	v_fma_f64 v[191:192], v[131:132], s[28:29], v[193:194]
	v_add_f64 v[54:55], v[54:55], v[70:71]
	v_add_f64 v[64:65], v[64:65], v[68:69]
	v_fma_f64 v[187:188], v[115:116], s[22:23], v[147:148]
	v_mul_f64 v[68:69], v[127:128], s[20:21]
	v_mul_f64 v[193:194], v[139:140], s[40:41]
	v_fma_f64 v[171:172], v[117:118], s[24:25], -v[171:172]
	v_add_f64 v[173:174], v[175:176], v[173:174]
	v_fma_f64 v[175:176], v[135:136], s[16:17], v[197:198]
	v_add_f64 v[54:55], v[54:55], v[74:75]
	v_add_f64 v[64:65], v[64:65], v[72:73]
	;; [unrolled: 1-line block ×3, first 2 shown]
	v_mul_f64 v[119:120], v[119:120], s[36:37]
	v_fma_f64 v[181:182], v[111:112], s[28:29], v[145:146]
	v_add_f64 v[187:188], v[50:51], v[187:188]
	v_fma_f64 v[115:116], v[115:116], s[22:23], -v[147:148]
	v_mul_f64 v[125:126], v[125:126], s[34:35]
	v_fma_f64 v[72:73], v[123:124], s[22:23], v[68:69]
	v_fma_f64 v[68:69], v[123:124], s[22:23], -v[68:69]
	v_add_f64 v[54:55], v[54:55], v[78:79]
	v_add_f64 v[64:65], v[64:65], v[76:77]
	v_fma_f64 v[185:186], v[133:134], s[22:23], v[185:186]
	v_mul_f64 v[201:202], v[141:142], s[30:31]
	v_add_f64 v[56:57], v[171:172], v[173:174]
	v_fma_f64 v[58:59], v[133:134], s[24:25], v[193:194]
	v_add_f64 v[171:172], v[175:176], v[177:178]
	v_mul_f64 v[109:110], v[109:110], s[14:15]
	v_fma_f64 v[173:174], v[113:114], s[8:9], v[119:120]
	v_add_f64 v[175:176], v[181:182], v[187:188]
	v_mul_f64 v[74:75], v[129:130], s[36:37]
	v_fma_f64 v[111:112], v[111:112], s[28:29], -v[145:146]
	v_add_f64 v[50:51], v[50:51], v[115:116]
	v_fma_f64 v[115:116], v[121:122], s[28:29], v[125:126]
	v_add_f64 v[72:73], v[48:49], v[72:73]
	v_fma_f64 v[76:77], v[121:122], s[28:29], -v[125:126]
	v_add_f64 v[48:49], v[48:49], v[68:69]
	v_add_f64 v[54:55], v[54:55], v[82:83]
	;; [unrolled: 1-line block ×4, first 2 shown]
	v_mul_f64 v[185:186], v[107:108], s[30:31]
	v_fma_f64 v[60:61], v[131:132], s[8:9], v[201:202]
	v_add_f64 v[58:59], v[58:59], v[171:172]
	v_mul_f64 v[62:63], v[107:108], s[26:27]
	v_fma_f64 v[107:108], v[117:118], s[10:11], v[109:110]
	v_add_f64 v[171:172], v[173:174], v[175:176]
	v_mul_f64 v[127:128], v[139:140], s[14:15]
	v_fma_f64 v[68:69], v[113:114], s[8:9], -v[119:120]
	v_add_f64 v[50:51], v[111:112], v[50:51]
	v_fma_f64 v[78:79], v[135:136], s[8:9], v[74:75]
	v_add_f64 v[72:73], v[115:116], v[72:73]
	v_fma_f64 v[74:75], v[135:136], s[8:9], -v[74:75]
	v_add_f64 v[48:49], v[76:77], v[48:49]
	v_add_f64 v[54:55], v[54:55], v[86:87]
	;; [unrolled: 1-line block ×4, first 2 shown]
	v_mul_f64 v[60:61], v[105:106], s[18:19]
	v_add_f64 v[105:106], v[107:108], v[171:172]
	v_mul_f64 v[107:108], v[141:142], s[26:27]
	v_fma_f64 v[76:77], v[117:118], s[10:11], -v[109:110]
	v_add_f64 v[50:51], v[68:69], v[50:51]
	v_fma_f64 v[68:69], v[133:134], s[10:11], v[127:128]
	v_add_f64 v[72:73], v[78:79], v[72:73]
	v_fma_f64 v[195:196], v[137:138], s[24:25], v[195:196]
	;; [unrolled: 2-line block ×3, first 2 shown]
	v_fma_f64 v[185:186], v[103:104], s[8:9], -v[185:186]
	v_fma_f64 v[78:79], v[133:134], s[10:11], -v[127:128]
	v_add_f64 v[48:49], v[74:75], v[48:49]
	v_fma_f64 v[209:210], v[133:134], s[24:25], -v[193:194]
	v_add_f64 v[2:3], v[54:55], v[2:3]
	v_add_f64 v[0:1], v[64:65], v[0:1]
	v_fma_f64 v[66:67], v[103:104], s[24:25], v[62:63]
	v_mul_f64 v[70:71], v[143:144], s[18:19]
	v_fma_f64 v[62:63], v[103:104], s[24:25], -v[62:63]
	v_add_f64 v[50:51], v[76:77], v[50:51]
	v_fma_f64 v[74:75], v[131:132], s[24:25], v[107:108]
	v_add_f64 v[54:55], v[68:69], v[72:73]
	v_add_f64 v[169:170], v[179:180], v[167:168]
	;; [unrolled: 1-line block ×3, first 2 shown]
	v_fma_f64 v[195:196], v[101:102], s[22:23], -v[203:204]
	v_add_f64 v[56:57], v[185:186], v[56:57]
	v_fma_f64 v[64:65], v[131:132], s[24:25], -v[107:108]
	v_add_f64 v[48:49], v[78:79], v[48:49]
	;; [unrolled: 2-line block ×3, first 2 shown]
	v_add_f64 v[6:7], v[2:3], v[6:7]
	v_add_f64 v[0:1], v[0:1], v[4:5]
	v_fma_f64 v[68:69], v[101:102], s[16:17], -v[60:61]
	v_add_f64 v[50:51], v[62:63], v[50:51]
	v_fma_f64 v[62:63], v[137:138], s[16:17], v[70:71]
	v_add_f64 v[54:55], v[74:75], v[54:55]
	v_add_f64 v[52:53], v[195:196], v[56:57]
	v_fma_f64 v[56:57], v[137:138], s[22:23], v[199:200]
	v_fma_f64 v[70:71], v[137:138], s[16:17], -v[70:71]
	v_add_f64 v[48:49], v[64:65], v[48:49]
	v_fma_f64 v[179:180], v[101:102], s[22:23], v[203:204]
	v_add_f64 v[183:184], v[211:212], v[183:184]
	v_fma_f64 v[191:192], v[137:138], s[22:23], -v[199:200]
	v_add_f64 v[189:190], v[213:214], v[189:190]
	v_fma_f64 v[60:61], v[101:102], s[16:17], v[60:61]
	v_add_f64 v[66:67], v[66:67], v[105:106]
	v_add_f64 v[6:7], v[6:7], v[10:11]
	;; [unrolled: 1-line block ×7, first 2 shown]
	v_lshl_add_u32 v48, v208, 4, v207
	v_add_f64 v[10:11], v[179:180], v[183:184]
	v_add_f64 v[8:9], v[191:192], v[189:190]
	;; [unrolled: 1-line block ×3, first 2 shown]
	ds_write_b128 v48, v[4:7]
	ds_write_b128 v48, v[0:3] offset:16
	ds_write_b128 v48, v[50:53] offset:32
	;; [unrolled: 1-line block ×12, first 2 shown]
.LBB0_13:
	s_or_b64 exec, exec, s[4:5]
	s_waitcnt lgkmcnt(0)
	; wave barrier
	s_waitcnt lgkmcnt(0)
	ds_read_b128 v[0:3], v150
	ds_read_b128 v[4:7], v150 offset:208
	ds_read_b128 v[8:11], v150 offset:416
	;; [unrolled: 1-line block ×5, first 2 shown]
	s_waitcnt lgkmcnt(4)
	v_mul_f64 v[76:77], v[30:31], v[6:7]
	v_mul_f64 v[30:31], v[30:31], v[4:5]
	s_waitcnt lgkmcnt(3)
	v_mul_f64 v[78:79], v[22:23], v[10:11]
	v_mul_f64 v[22:23], v[22:23], v[8:9]
	ds_read_b128 v[60:63], v150 offset:1248
	ds_read_b128 v[64:67], v150 offset:1456
	;; [unrolled: 1-line block ×4, first 2 shown]
	s_mov_b32 s8, 0x134454ff
	s_mov_b32 s9, 0xbfee6f0e
	v_fma_f64 v[4:5], v[28:29], v[4:5], v[76:77]
	v_fma_f64 v[6:7], v[28:29], v[6:7], -v[30:31]
	s_waitcnt lgkmcnt(6)
	v_mul_f64 v[28:29], v[18:19], v[50:51]
	v_mul_f64 v[18:19], v[18:19], v[48:49]
	v_fma_f64 v[8:9], v[20:21], v[8:9], v[78:79]
	s_waitcnt lgkmcnt(5)
	v_mul_f64 v[30:31], v[14:15], v[54:55]
	v_fma_f64 v[10:11], v[20:21], v[10:11], -v[22:23]
	v_mul_f64 v[14:15], v[14:15], v[52:53]
	s_waitcnt lgkmcnt(4)
	v_mul_f64 v[20:21], v[42:43], v[58:59]
	s_waitcnt lgkmcnt(3)
	v_mul_f64 v[22:23], v[34:35], v[62:63]
	v_fma_f64 v[28:29], v[16:17], v[48:49], v[28:29]
	v_fma_f64 v[16:17], v[16:17], v[50:51], -v[18:19]
	v_mul_f64 v[18:19], v[42:43], v[56:57]
	v_fma_f64 v[30:31], v[12:13], v[52:53], v[30:31]
	v_add_f64 v[42:43], v[0:1], v[8:9]
	v_fma_f64 v[12:13], v[12:13], v[54:55], -v[14:15]
	v_fma_f64 v[14:15], v[40:41], v[56:57], v[20:21]
	v_fma_f64 v[20:21], v[32:33], v[60:61], v[22:23]
	s_waitcnt lgkmcnt(1)
	v_mul_f64 v[22:23], v[38:39], v[68:69]
	v_mul_f64 v[38:39], v[38:39], v[70:71]
	v_fma_f64 v[18:19], v[40:41], v[58:59], -v[18:19]
	v_mul_f64 v[34:35], v[34:35], v[60:61]
	v_add_f64 v[40:41], v[42:43], v[30:31]
	v_mul_f64 v[42:43], v[26:27], v[66:67]
	v_mul_f64 v[26:27], v[26:27], v[64:65]
	v_add_f64 v[48:49], v[30:31], v[20:21]
	v_fma_f64 v[22:23], v[36:37], v[70:71], -v[22:23]
	v_fma_f64 v[36:37], v[36:37], v[68:69], v[38:39]
	s_waitcnt lgkmcnt(0)
	v_mul_f64 v[38:39], v[46:47], v[74:75]
	v_mul_f64 v[46:47], v[46:47], v[72:73]
	v_fma_f64 v[32:33], v[32:33], v[62:63], -v[34:35]
	v_fma_f64 v[34:35], v[24:25], v[64:65], v[42:43]
	v_fma_f64 v[24:25], v[24:25], v[66:67], -v[26:27]
	v_fma_f64 v[42:43], v[48:49], -0.5, v[0:1]
	v_add_f64 v[48:49], v[10:11], -v[22:23]
	s_mov_b32 s5, 0x3fee6f0e
	v_fma_f64 v[26:27], v[44:45], v[72:73], v[38:39]
	v_fma_f64 v[38:39], v[44:45], v[74:75], -v[46:47]
	v_add_f64 v[44:45], v[8:9], v[36:37]
	s_mov_b32 s4, s8
	v_add_f64 v[50:51], v[12:13], -v[32:33]
	v_add_f64 v[52:53], v[8:9], -v[30:31]
	v_fma_f64 v[46:47], v[48:49], s[8:9], v[42:43]
	v_add_f64 v[54:55], v[36:37], -v[20:21]
	v_fma_f64 v[42:43], v[48:49], s[4:5], v[42:43]
	s_mov_b32 s16, 0x4755a5e
	v_fma_f64 v[0:1], v[44:45], -0.5, v[0:1]
	s_mov_b32 s17, 0xbfe2cf23
	s_mov_b32 s11, 0x3fe2cf23
	;; [unrolled: 1-line block ×3, first 2 shown]
	v_add_f64 v[40:41], v[40:41], v[20:21]
	v_fma_f64 v[44:45], v[50:51], s[16:17], v[46:47]
	v_add_f64 v[46:47], v[52:53], v[54:55]
	v_add_f64 v[52:53], v[12:13], v[32:33]
	v_fma_f64 v[42:43], v[50:51], s[10:11], v[42:43]
	v_fma_f64 v[54:55], v[50:51], s[4:5], v[0:1]
	v_add_f64 v[56:57], v[30:31], -v[8:9]
	v_add_f64 v[58:59], v[20:21], -v[36:37]
	v_add_f64 v[60:61], v[2:3], v[10:11]
	v_fma_f64 v[0:1], v[50:51], s[8:9], v[0:1]
	s_mov_b32 s14, 0x372fe950
	s_mov_b32 s15, 0x3fd3c6ef
	v_add_f64 v[40:41], v[40:41], v[36:37]
	v_fma_f64 v[52:53], v[52:53], -0.5, v[2:3]
	v_add_f64 v[8:9], v[8:9], -v[36:37]
	v_fma_f64 v[36:37], v[46:47], s[14:15], v[44:45]
	v_fma_f64 v[42:43], v[46:47], s[14:15], v[42:43]
	;; [unrolled: 1-line block ×3, first 2 shown]
	v_add_f64 v[46:47], v[56:57], v[58:59]
	v_add_f64 v[50:51], v[60:61], v[12:13]
	v_fma_f64 v[0:1], v[48:49], s[10:11], v[0:1]
	v_add_f64 v[20:21], v[30:31], -v[20:21]
	v_fma_f64 v[54:55], v[8:9], s[4:5], v[52:53]
	v_add_f64 v[30:31], v[10:11], -v[12:13]
	v_add_f64 v[56:57], v[22:23], -v[32:33]
	v_fma_f64 v[52:53], v[8:9], s[8:9], v[52:53]
	v_add_f64 v[58:59], v[10:11], v[22:23]
	v_add_f64 v[48:49], v[50:51], v[32:33]
	v_fma_f64 v[44:45], v[46:47], s[14:15], v[44:45]
	v_add_f64 v[50:51], v[14:15], v[34:35]
	v_fma_f64 v[46:47], v[46:47], s[14:15], v[0:1]
	;; [unrolled: 2-line block ×4, first 2 shown]
	v_fma_f64 v[2:3], v[58:59], -0.5, v[2:3]
	v_add_f64 v[56:57], v[16:17], -v[38:39]
	v_fma_f64 v[50:51], v[50:51], -0.5, v[4:5]
	v_add_f64 v[48:49], v[48:49], v[22:23]
	v_add_f64 v[0:1], v[0:1], v[14:15]
	v_add_f64 v[10:11], v[12:13], -v[10:11]
	v_fma_f64 v[54:55], v[30:31], s[14:15], v[54:55]
	v_fma_f64 v[52:53], v[30:31], s[14:15], v[52:53]
	;; [unrolled: 1-line block ×3, first 2 shown]
	v_add_f64 v[12:13], v[32:33], -v[22:23]
	v_fma_f64 v[2:3], v[20:21], s[4:5], v[2:3]
	v_fma_f64 v[20:21], v[56:57], s[8:9], v[50:51]
	v_add_f64 v[22:23], v[18:19], -v[24:25]
	v_add_f64 v[32:33], v[28:29], -v[14:15]
	v_add_f64 v[58:59], v[26:27], -v[34:35]
	v_add_f64 v[60:61], v[28:29], v[26:27]
	v_add_f64 v[62:63], v[18:19], v[24:25]
	;; [unrolled: 1-line block ×3, first 2 shown]
	v_fma_f64 v[30:31], v[8:9], s[10:11], v[30:31]
	v_add_f64 v[10:11], v[10:11], v[12:13]
	v_fma_f64 v[2:3], v[8:9], s[16:17], v[2:3]
	v_fma_f64 v[8:9], v[22:23], s[16:17], v[20:21]
	v_add_f64 v[12:13], v[32:33], v[58:59]
	v_fma_f64 v[4:5], v[60:61], -0.5, v[4:5]
	v_fma_f64 v[20:21], v[56:57], s[4:5], v[50:51]
	v_fma_f64 v[32:33], v[62:63], -0.5, v[6:7]
	v_add_f64 v[50:51], v[28:29], -v[26:27]
	v_add_f64 v[60:61], v[0:1], v[26:27]
	v_add_f64 v[0:1], v[16:17], v[38:39]
	v_fma_f64 v[30:31], v[10:11], s[14:15], v[30:31]
	v_fma_f64 v[58:59], v[10:11], s[14:15], v[2:3]
	v_add_f64 v[62:63], v[14:15], -v[34:35]
	v_fma_f64 v[10:11], v[22:23], s[10:11], v[20:21]
	v_add_f64 v[64:65], v[16:17], -v[18:19]
	;; [unrolled: 2-line block ×3, first 2 shown]
	v_fma_f64 v[0:1], v[0:1], -0.5, v[6:7]
	v_add_f64 v[6:7], v[6:7], v[16:17]
	v_fma_f64 v[2:3], v[22:23], s[4:5], v[4:5]
	v_add_f64 v[14:15], v[14:15], -v[28:29]
	v_add_f64 v[26:27], v[34:35], -v[26:27]
	v_fma_f64 v[4:5], v[22:23], s[8:9], v[4:5]
	v_fma_f64 v[20:21], v[62:63], s[10:11], v[20:21]
	v_add_f64 v[22:23], v[64:65], v[66:67]
	v_fma_f64 v[28:29], v[62:63], s[8:9], v[0:1]
	v_add_f64 v[16:17], v[18:19], -v[16:17]
	v_add_f64 v[34:35], v[24:25], -v[38:39]
	v_fma_f64 v[0:1], v[62:63], s[4:5], v[0:1]
	v_add_f64 v[6:7], v[6:7], v[18:19]
	v_fma_f64 v[18:19], v[50:51], s[8:9], v[32:33]
	v_fma_f64 v[2:3], v[56:57], s[16:17], v[2:3]
	v_add_f64 v[14:15], v[14:15], v[26:27]
	v_fma_f64 v[4:5], v[56:57], s[10:11], v[4:5]
	v_fma_f64 v[20:21], v[22:23], s[14:15], v[20:21]
	;; [unrolled: 1-line block ×3, first 2 shown]
	v_add_f64 v[16:17], v[16:17], v[34:35]
	v_fma_f64 v[0:1], v[50:51], s[16:17], v[0:1]
	v_add_f64 v[6:7], v[6:7], v[24:25]
	v_fma_f64 v[18:19], v[62:63], s[16:17], v[18:19]
	v_fma_f64 v[8:9], v[12:13], s[14:15], v[8:9]
	;; [unrolled: 1-line block ×5, first 2 shown]
	v_mul_f64 v[4:5], v[20:21], s[16:17]
	v_fma_f64 v[14:15], v[16:17], s[14:15], v[26:27]
	v_fma_f64 v[16:17], v[16:17], s[14:15], v[0:1]
	v_add_f64 v[26:27], v[6:7], v[38:39]
	v_fma_f64 v[6:7], v[22:23], s[14:15], v[18:19]
	s_mov_b32 s18, 0x9b97f4a8
	s_mov_b32 s19, 0x3fe9e377
	v_mul_f64 v[20:21], v[20:21], s[18:19]
	v_fma_f64 v[22:23], v[8:9], s[18:19], v[4:5]
	v_mul_f64 v[4:5], v[14:15], s[8:9]
	v_mul_f64 v[18:19], v[16:17], s[8:9]
	s_mov_b32 s9, 0xbfd3c6ef
	s_mov_b32 s8, s14
	v_mul_f64 v[14:15], v[14:15], s[14:15]
	v_mul_f64 v[24:25], v[6:7], s[16:17]
	s_mov_b32 s17, 0xbfe9e377
	s_mov_b32 s16, s18
	v_mul_f64 v[16:17], v[16:17], s[8:9]
	v_mul_f64 v[6:7], v[6:7], s[16:17]
	v_fma_f64 v[38:39], v[8:9], s[10:11], v[20:21]
	v_fma_f64 v[28:29], v[2:3], s[14:15], v[4:5]
	;; [unrolled: 1-line block ×5, first 2 shown]
	v_add_f64 v[0:1], v[40:41], v[60:61]
	v_fma_f64 v[56:57], v[12:13], s[4:5], v[16:17]
	v_fma_f64 v[62:63], v[10:11], s[10:11], v[6:7]
	v_add_f64 v[2:3], v[48:49], v[26:27]
	v_add_f64 v[4:5], v[36:37], v[22:23]
	;; [unrolled: 1-line block ×9, first 2 shown]
	v_add_f64 v[20:21], v[40:41], -v[60:61]
	v_add_f64 v[24:25], v[36:37], -v[22:23]
	;; [unrolled: 1-line block ×10, first 2 shown]
	ds_write_b128 v149, v[0:3]
	ds_write_b128 v149, v[4:7] offset:208
	ds_write_b128 v149, v[8:11] offset:416
	;; [unrolled: 1-line block ×9, first 2 shown]
	s_waitcnt lgkmcnt(0)
	; wave barrier
	s_waitcnt lgkmcnt(0)
	s_and_b64 exec, exec, vcc
	s_cbranch_execz .LBB0_15
; %bb.14:
	global_load_dwordx4 v[0:3], v206, s[12:13]
	global_load_dwordx4 v[4:7], v206, s[12:13] offset:160
	global_load_dwordx4 v[8:11], v206, s[12:13] offset:320
	;; [unrolled: 1-line block ×6, first 2 shown]
	ds_read_b128 v[28:31], v149
	ds_read_b128 v[32:35], v149 offset:160
	ds_read_b128 v[36:39], v149 offset:320
	;; [unrolled: 1-line block ×7, first 2 shown]
	global_load_dwordx4 v[60:63], v206, s[12:13] offset:1120
	global_load_dwordx4 v[64:67], v206, s[12:13] offset:1280
	;; [unrolled: 1-line block ×6, first 2 shown]
	v_mad_u64_u32 v[84:85], s[4:5], s2, v100, 0
	v_mad_u64_u32 v[86:87], s[8:9], s0, v205, 0
	v_mov_b32_e32 v91, s7
	s_mul_i32 s7, s1, 0xa0
	s_mul_hi_u32 s8, s0, 0xa0
	s_add_i32 s10, s8, s7
	v_mad_u64_u32 v[88:89], s[8:9], s3, v100, v[85:86]
	s_mul_i32 s2, s0, 0xa0
	v_mov_b32_e32 v92, s10
	v_mad_u64_u32 v[89:90], s[8:9], s1, v205, v[87:88]
	v_mov_b32_e32 v85, v88
	v_lshlrev_b64 v[84:85], 4, v[84:85]
	v_mov_b32_e32 v87, v89
	v_lshlrev_b64 v[86:87], 4, v[86:87]
	v_add_co_u32_e32 v107, vcc, s6, v84
	v_addc_co_u32_e32 v108, vcc, v91, v85, vcc
	v_add_co_u32_e32 v84, vcc, v107, v86
	v_addc_co_u32_e32 v85, vcc, v108, v87, vcc
	;; [unrolled: 2-line block ×3, first 2 shown]
	v_mov_b32_e32 v93, s10
	v_add_co_u32_e32 v88, vcc, s2, v86
	v_addc_co_u32_e32 v89, vcc, v87, v93, vcc
	v_mov_b32_e32 v94, s10
	v_add_co_u32_e32 v90, vcc, s2, v88
	v_addc_co_u32_e32 v91, vcc, v89, v94, vcc
	s_mov_b32 s4, 0x1f81f820
	s_mov_b32 s5, 0x3f7f81f8
	v_mov_b32_e32 v106, s10
	s_waitcnt vmcnt(12) lgkmcnt(7)
	v_mul_f64 v[92:93], v[30:31], v[2:3]
	v_mul_f64 v[2:3], v[28:29], v[2:3]
	s_waitcnt vmcnt(11) lgkmcnt(6)
	v_mul_f64 v[94:95], v[34:35], v[6:7]
	v_mul_f64 v[6:7], v[32:33], v[6:7]
	;; [unrolled: 3-line block ×4, first 2 shown]
	v_fma_f64 v[28:29], v[28:29], v[0:1], v[92:93]
	v_fma_f64 v[2:3], v[0:1], v[30:31], -v[2:3]
	v_fma_f64 v[30:31], v[32:33], v[4:5], v[94:95]
	v_fma_f64 v[6:7], v[4:5], v[34:35], -v[6:7]
	;; [unrolled: 2-line block ×4, first 2 shown]
	s_waitcnt vmcnt(8) lgkmcnt(3)
	v_mul_f64 v[100:101], v[46:47], v[18:19]
	v_mul_f64 v[18:19], v[44:45], v[18:19]
	s_waitcnt vmcnt(7) lgkmcnt(2)
	v_mul_f64 v[102:103], v[50:51], v[22:23]
	v_mul_f64 v[22:23], v[48:49], v[22:23]
	;; [unrolled: 1-line block ×10, first 2 shown]
	v_fma_f64 v[36:37], v[44:45], v[16:17], v[100:101]
	v_fma_f64 v[18:19], v[16:17], v[46:47], -v[18:19]
	s_waitcnt vmcnt(6) lgkmcnt(1)
	v_mul_f64 v[104:105], v[54:55], v[26:27]
	v_fma_f64 v[28:29], v[48:49], v[20:21], v[102:103]
	v_fma_f64 v[20:21], v[20:21], v[50:51], -v[22:23]
	global_store_dwordx4 v[84:85], v[0:3], off
	global_store_dwordx4 v[86:87], v[4:7], off
	;; [unrolled: 1-line block ×4, first 2 shown]
	v_mul_f64 v[4:5], v[52:53], v[26:27]
	s_waitcnt vmcnt(9) lgkmcnt(0)
	v_mul_f64 v[10:11], v[58:59], v[62:63]
	v_mul_f64 v[16:17], v[36:37], s[4:5]
	;; [unrolled: 1-line block ×3, first 2 shown]
	v_fma_f64 v[8:9], v[52:53], v[24:25], v[104:105]
	v_mul_f64 v[0:1], v[28:29], s[4:5]
	v_mul_f64 v[2:3], v[20:21], s[4:5]
	v_add_co_u32_e32 v6, vcc, s2, v90
	v_fma_f64 v[4:5], v[24:25], v[54:55], -v[4:5]
	v_addc_co_u32_e32 v7, vcc, v91, v106, vcc
	v_mul_f64 v[12:13], v[56:57], v[62:63]
	global_store_dwordx4 v[6:7], v[16:19], off
	v_mov_b32_e32 v14, s10
	v_add_co_u32_e32 v6, vcc, s2, v6
	v_addc_co_u32_e32 v7, vcc, v7, v14, vcc
	global_store_dwordx4 v[6:7], v[0:3], off
	v_or_b32_e32 v22, 0x50, v205
	v_mul_f64 v[0:1], v[8:9], s[4:5]
	v_mul_f64 v[2:3], v[4:5], s[4:5]
	v_fma_f64 v[4:5], v[56:57], v[60:61], v[10:11]
	v_fma_f64 v[8:9], v[60:61], v[58:59], -v[12:13]
	v_mov_b32_e32 v10, s10
	v_add_co_u32_e32 v12, vcc, s2, v6
	v_addc_co_u32_e32 v13, vcc, v7, v10, vcc
	global_store_dwordx4 v[12:13], v[0:3], off
	v_mad_u64_u32 v[18:19], s[6:7], s0, v22, 0
	v_mul_f64 v[0:1], v[4:5], s[4:5]
	ds_read_b128 v[4:7], v149 offset:1280
	v_mul_f64 v[2:3], v[8:9], s[4:5]
	ds_read_b128 v[8:11], v149 offset:1440
	v_mov_b32_e32 v20, s10
	v_add_co_u32_e32 v12, vcc, s2, v12
	s_waitcnt vmcnt(11) lgkmcnt(1)
	v_mul_f64 v[14:15], v[6:7], v[66:67]
	v_mul_f64 v[16:17], v[4:5], v[66:67]
	v_addc_co_u32_e32 v13, vcc, v13, v20, vcc
	global_store_dwordx4 v[12:13], v[0:3], off
	s_waitcnt vmcnt(11) lgkmcnt(0)
	v_mul_f64 v[20:21], v[8:9], v[70:71]
	v_mov_b32_e32 v26, s10
	v_fma_f64 v[4:5], v[4:5], v[64:65], v[14:15]
	v_fma_f64 v[6:7], v[64:65], v[6:7], -v[16:17]
	v_mul_f64 v[15:16], v[10:11], v[70:71]
	v_mov_b32_e32 v14, v19
	v_fma_f64 v[10:11], v[68:69], v[10:11], -v[20:21]
	v_mul_f64 v[0:1], v[4:5], s[4:5]
	v_mul_f64 v[2:3], v[6:7], s[4:5]
	v_mad_u64_u32 v[22:23], s[6:7], s1, v22, v[14:15]
	ds_read_b128 v[4:7], v149 offset:1600
	v_fma_f64 v[8:9], v[8:9], v[68:69], v[15:16]
	v_mov_b32_e32 v19, v22
	v_lshlrev_b64 v[17:18], 4, v[18:19]
	v_mul_f64 v[10:11], v[10:11], s[4:5]
	v_add_co_u32_e32 v14, vcc, v107, v17
	v_addc_co_u32_e32 v15, vcc, v108, v18, vcc
	global_store_dwordx4 v[14:15], v[0:3], off
	ds_read_b128 v[0:3], v149 offset:1760
	s_waitcnt vmcnt(11) lgkmcnt(1)
	v_mul_f64 v[14:15], v[6:7], v[74:75]
	v_mul_f64 v[16:17], v[4:5], v[74:75]
	v_mov_b32_e32 v18, 0x140
	v_mad_u64_u32 v[18:19], s[6:7], s0, v18, v[12:13]
	s_waitcnt vmcnt(10) lgkmcnt(0)
	v_mul_f64 v[20:21], v[0:1], v[78:79]
	v_mul_f64 v[8:9], v[8:9], s[4:5]
	s_mul_i32 s0, s1, 0x140
	v_fma_f64 v[4:5], v[4:5], v[72:73], v[14:15]
	ds_read_b128 v[12:15], v149 offset:1920
	v_fma_f64 v[6:7], v[72:73], v[6:7], -v[16:17]
	v_mul_f64 v[16:17], v[2:3], v[78:79]
	v_add_u32_e32 v19, s0, v19
	v_fma_f64 v[2:3], v[76:77], v[2:3], -v[20:21]
	s_waitcnt vmcnt(9) lgkmcnt(0)
	v_mul_f64 v[22:23], v[14:15], v[82:83]
	v_mul_f64 v[24:25], v[12:13], v[82:83]
	global_store_dwordx4 v[18:19], v[8:11], off
	v_mul_f64 v[4:5], v[4:5], s[4:5]
	v_mul_f64 v[6:7], v[6:7], s[4:5]
	v_fma_f64 v[0:1], v[0:1], v[76:77], v[16:17]
	v_mul_f64 v[2:3], v[2:3], s[4:5]
	v_fma_f64 v[8:9], v[12:13], v[80:81], v[22:23]
	v_fma_f64 v[10:11], v[80:81], v[14:15], -v[24:25]
	v_add_co_u32_e32 v12, vcc, s2, v18
	v_addc_co_u32_e32 v13, vcc, v19, v26, vcc
	v_mul_f64 v[0:1], v[0:1], s[4:5]
	global_store_dwordx4 v[12:13], v[4:7], off
	v_mov_b32_e32 v14, s10
	v_mul_f64 v[4:5], v[8:9], s[4:5]
	v_mul_f64 v[6:7], v[10:11], s[4:5]
	v_add_co_u32_e32 v8, vcc, s2, v12
	v_addc_co_u32_e32 v9, vcc, v13, v14, vcc
	global_store_dwordx4 v[8:9], v[0:3], off
	s_nop 0
	v_mov_b32_e32 v1, s10
	v_add_co_u32_e32 v0, vcc, s2, v8
	v_addc_co_u32_e32 v1, vcc, v9, v1, vcc
	global_store_dwordx4 v[0:1], v[4:7], off
.LBB0_15:
	s_endpgm
	.section	.rodata,"a",@progbits
	.p2align	6, 0x0
	.amdhsa_kernel bluestein_single_back_len130_dim1_dp_op_CI_CI
		.amdhsa_group_segment_fixed_size 8320
		.amdhsa_private_segment_fixed_size 0
		.amdhsa_kernarg_size 104
		.amdhsa_user_sgpr_count 6
		.amdhsa_user_sgpr_private_segment_buffer 1
		.amdhsa_user_sgpr_dispatch_ptr 0
		.amdhsa_user_sgpr_queue_ptr 0
		.amdhsa_user_sgpr_kernarg_segment_ptr 1
		.amdhsa_user_sgpr_dispatch_id 0
		.amdhsa_user_sgpr_flat_scratch_init 0
		.amdhsa_user_sgpr_private_segment_size 0
		.amdhsa_uses_dynamic_stack 0
		.amdhsa_system_sgpr_private_segment_wavefront_offset 0
		.amdhsa_system_sgpr_workgroup_id_x 1
		.amdhsa_system_sgpr_workgroup_id_y 0
		.amdhsa_system_sgpr_workgroup_id_z 0
		.amdhsa_system_sgpr_workgroup_info 0
		.amdhsa_system_vgpr_workitem_id 0
		.amdhsa_next_free_vgpr 252
		.amdhsa_next_free_sgpr 48
		.amdhsa_reserve_vcc 1
		.amdhsa_reserve_flat_scratch 0
		.amdhsa_float_round_mode_32 0
		.amdhsa_float_round_mode_16_64 0
		.amdhsa_float_denorm_mode_32 3
		.amdhsa_float_denorm_mode_16_64 3
		.amdhsa_dx10_clamp 1
		.amdhsa_ieee_mode 1
		.amdhsa_fp16_overflow 0
		.amdhsa_exception_fp_ieee_invalid_op 0
		.amdhsa_exception_fp_denorm_src 0
		.amdhsa_exception_fp_ieee_div_zero 0
		.amdhsa_exception_fp_ieee_overflow 0
		.amdhsa_exception_fp_ieee_underflow 0
		.amdhsa_exception_fp_ieee_inexact 0
		.amdhsa_exception_int_div_zero 0
	.end_amdhsa_kernel
	.text
.Lfunc_end0:
	.size	bluestein_single_back_len130_dim1_dp_op_CI_CI, .Lfunc_end0-bluestein_single_back_len130_dim1_dp_op_CI_CI
                                        ; -- End function
	.section	.AMDGPU.csdata,"",@progbits
; Kernel info:
; codeLenInByte = 14976
; NumSgprs: 52
; NumVgprs: 252
; ScratchSize: 0
; MemoryBound: 0
; FloatMode: 240
; IeeeMode: 1
; LDSByteSize: 8320 bytes/workgroup (compile time only)
; SGPRBlocks: 6
; VGPRBlocks: 62
; NumSGPRsForWavesPerEU: 52
; NumVGPRsForWavesPerEU: 252
; Occupancy: 1
; WaveLimiterHint : 1
; COMPUTE_PGM_RSRC2:SCRATCH_EN: 0
; COMPUTE_PGM_RSRC2:USER_SGPR: 6
; COMPUTE_PGM_RSRC2:TRAP_HANDLER: 0
; COMPUTE_PGM_RSRC2:TGID_X_EN: 1
; COMPUTE_PGM_RSRC2:TGID_Y_EN: 0
; COMPUTE_PGM_RSRC2:TGID_Z_EN: 0
; COMPUTE_PGM_RSRC2:TIDIG_COMP_CNT: 0
	.type	__hip_cuid_fb290a4cf652fabf,@object ; @__hip_cuid_fb290a4cf652fabf
	.section	.bss,"aw",@nobits
	.globl	__hip_cuid_fb290a4cf652fabf
__hip_cuid_fb290a4cf652fabf:
	.byte	0                               ; 0x0
	.size	__hip_cuid_fb290a4cf652fabf, 1

	.ident	"AMD clang version 19.0.0git (https://github.com/RadeonOpenCompute/llvm-project roc-6.4.0 25133 c7fe45cf4b819c5991fe208aaa96edf142730f1d)"
	.section	".note.GNU-stack","",@progbits
	.addrsig
	.addrsig_sym __hip_cuid_fb290a4cf652fabf
	.amdgpu_metadata
---
amdhsa.kernels:
  - .args:
      - .actual_access:  read_only
        .address_space:  global
        .offset:         0
        .size:           8
        .value_kind:     global_buffer
      - .actual_access:  read_only
        .address_space:  global
        .offset:         8
        .size:           8
        .value_kind:     global_buffer
      - .actual_access:  read_only
        .address_space:  global
        .offset:         16
        .size:           8
        .value_kind:     global_buffer
      - .actual_access:  read_only
        .address_space:  global
        .offset:         24
        .size:           8
        .value_kind:     global_buffer
      - .actual_access:  read_only
        .address_space:  global
        .offset:         32
        .size:           8
        .value_kind:     global_buffer
      - .offset:         40
        .size:           8
        .value_kind:     by_value
      - .address_space:  global
        .offset:         48
        .size:           8
        .value_kind:     global_buffer
      - .address_space:  global
        .offset:         56
        .size:           8
        .value_kind:     global_buffer
      - .address_space:  global
        .offset:         64
        .size:           8
        .value_kind:     global_buffer
      - .address_space:  global
        .offset:         72
        .size:           8
        .value_kind:     global_buffer
      - .offset:         80
        .size:           4
        .value_kind:     by_value
      - .address_space:  global
        .offset:         88
        .size:           8
        .value_kind:     global_buffer
      - .address_space:  global
        .offset:         96
        .size:           8
        .value_kind:     global_buffer
    .group_segment_fixed_size: 8320
    .kernarg_segment_align: 8
    .kernarg_segment_size: 104
    .language:       OpenCL C
    .language_version:
      - 2
      - 0
    .max_flat_workgroup_size: 52
    .name:           bluestein_single_back_len130_dim1_dp_op_CI_CI
    .private_segment_fixed_size: 0
    .sgpr_count:     52
    .sgpr_spill_count: 0
    .symbol:         bluestein_single_back_len130_dim1_dp_op_CI_CI.kd
    .uniform_work_group_size: 1
    .uses_dynamic_stack: false
    .vgpr_count:     252
    .vgpr_spill_count: 0
    .wavefront_size: 64
amdhsa.target:   amdgcn-amd-amdhsa--gfx906
amdhsa.version:
  - 1
  - 2
...

	.end_amdgpu_metadata
